;; amdgpu-corpus repo=ROCm/rocBLAS kind=compiled arch=gfx906 opt=O3
	.amdgcn_target "amdgcn-amd-amdhsa--gfx906"
	.amdhsa_code_object_version 6
	.section	.text._ZL35rocblas_iamax_iamin_kernel_part1_64ILi1024E26rocblas_fetch_amax_amin_64IfE22rocblas_reduce_amax_64PKf24rocblas_index_64_value_tIfEEvlT2_lllPT3_,"axG",@progbits,_ZL35rocblas_iamax_iamin_kernel_part1_64ILi1024E26rocblas_fetch_amax_amin_64IfE22rocblas_reduce_amax_64PKf24rocblas_index_64_value_tIfEEvlT2_lllPT3_,comdat
	.globl	_ZL35rocblas_iamax_iamin_kernel_part1_64ILi1024E26rocblas_fetch_amax_amin_64IfE22rocblas_reduce_amax_64PKf24rocblas_index_64_value_tIfEEvlT2_lllPT3_ ; -- Begin function _ZL35rocblas_iamax_iamin_kernel_part1_64ILi1024E26rocblas_fetch_amax_amin_64IfE22rocblas_reduce_amax_64PKf24rocblas_index_64_value_tIfEEvlT2_lllPT3_
	.p2align	8
	.type	_ZL35rocblas_iamax_iamin_kernel_part1_64ILi1024E26rocblas_fetch_amax_amin_64IfE22rocblas_reduce_amax_64PKf24rocblas_index_64_value_tIfEEvlT2_lllPT3_,@function
_ZL35rocblas_iamax_iamin_kernel_part1_64ILi1024E26rocblas_fetch_amax_amin_64IfE22rocblas_reduce_amax_64PKf24rocblas_index_64_value_tIfEEvlT2_lllPT3_: ; @_ZL35rocblas_iamax_iamin_kernel_part1_64ILi1024E26rocblas_fetch_amax_amin_64IfE22rocblas_reduce_amax_64PKf24rocblas_index_64_value_tIfEEvlT2_lllPT3_
; %bb.0:
	s_load_dwordx8 s[20:27], s[4:5], 0x0
	s_load_dwordx4 s[16:19], s[4:5], 0x20
	s_mov_b32 s10, s7
	s_waitcnt lgkmcnt(0)
	v_cmp_lt_i64_e64 s[0:1], s[20:21], 1
	s_and_b64 vcc, exec, s[0:1]
	s_cbranch_vccnz .LBB0_53
; %bb.1:
	v_mbcnt_lo_u32_b32 v2, -1, 0
	v_mbcnt_hi_u32_b32 v2, -1, v2
	v_and_b32_e32 v3, 63, v2
	v_mov_b32_e32 v4, 0x80
	v_cmp_gt_u32_e32 vcc, 48, v3
	v_lshl_or_b32 v13, v2, 2, v4
	v_cndmask_b32_e64 v4, 0, 16, vcc
	v_cmp_gt_u32_e32 vcc, 56, v3
	v_add_lshl_u32 v14, v4, v2, 2
	v_cndmask_b32_e64 v4, 0, 8, vcc
	v_cmp_gt_u32_e32 vcc, 60, v3
	v_add_lshl_u32 v15, v4, v2, 2
	v_cndmask_b32_e64 v4, 0, 4, vcc
	v_cmp_gt_u32_e32 vcc, 62, v3
	v_and_b32_e32 v1, 63, v0
	v_add_lshl_u32 v16, v4, v2, 2
	v_cndmask_b32_e64 v4, 0, 2, vcc
	v_cmp_ne_u32_e32 vcc, 63, v3
	v_lshlrev_b32_e32 v12, 4, v1
	v_add_lshl_u32 v17, v4, v2, 2
	v_addc_co_u32_e32 v2, vcc, 0, v2, vcc
	v_cmp_eq_u32_e64 s[2:3], 0, v1
	v_lshrrev_b32_e32 v1, 2, v0
	v_lshl_or_b32 v20, s6, 10, v0
	v_lshlrev_b32_e32 v18, 2, v2
	s_load_dword s7, s[4:5], 0x30
	v_and_b32_e32 v19, 0xf0, v1
	v_mad_u64_u32 v[1:2], s[12:13], s26, v20, 0
	s_mul_i32 s11, s17, s10
	s_mul_hi_u32 s12, s16, s10
	s_add_i32 s13, s12, s11
	v_mad_u64_u32 v[2:3], s[14:15], s27, v20, v[2:3]
	s_mul_i32 s12, s16, s10
	s_waitcnt lgkmcnt(0)
	s_lshl_b32 s7, s7, 10
	s_lshl_b64 s[12:13], s[12:13], 2
	s_lshl_b64 s[14:15], s[24:25], 2
	s_add_u32 s11, s22, s14
	s_addc_u32 s14, s23, s15
	v_lshlrev_b64 v[1:2], 2, v[1:2]
	s_add_u32 s11, s11, s12
	s_addc_u32 s12, s14, s13
	v_mov_b32_e32 v3, s12
	v_add_co_u32_e64 v6, s[12:13], s11, v1
	v_addc_co_u32_e64 v7, s[12:13], v3, v2, s[12:13]
	s_mul_i32 s11, s27, s7
	s_mul_hi_u32 s12, s26, s7
	v_cmp_ne_u32_e32 vcc, 0, v0
	s_add_i32 s13, s12, s11
	s_mul_i32 s12, s26, s7
	v_mov_b32_e32 v1, 0
	v_cmp_gt_u32_e64 s[0:1], 64, v0
	v_cmp_gt_u32_e64 s[8:9], 16, v0
	v_mov_b32_e32 v4, 0
	s_lshl_b64 s[22:23], s[12:13], 2
	s_mov_b64 s[24:25], 0
	v_mov_b32_e32 v2, 0
	s_xor_b64 s[26:27], vcc, -1
                                        ; implicit-def: $vgpr21
	s_branch .LBB0_4
.LBB0_2:                                ;   in Loop: Header=BB0_4 Depth=1
	s_or_b64 exec, exec, s[16:17]
	v_mov_b32_e32 v1, v8
	v_mov_b32_e32 v2, v9
	;; [unrolled: 1-line block ×3, first 2 shown]
.LBB0_3:                                ;   in Loop: Header=BB0_4 Depth=1
	s_or_b64 exec, exec, s[14:15]
	s_add_u32 s24, s24, s7
	v_mov_b32_e32 v8, s20
	s_addc_u32 s25, s25, 0
	v_mov_b32_e32 v9, s21
	v_cmp_ge_i64_e32 vcc, s[24:25], v[8:9]
	v_mov_b32_e32 v5, s23
	v_add_co_u32_e64 v6, s[12:13], s22, v6
	v_addc_co_u32_e64 v7, s[12:13], v7, v5, s[12:13]
	s_cbranch_vccnz .LBB0_54
.LBB0_4:                                ; =>This Inner Loop Header: Depth=1
	v_mov_b32_e32 v5, s25
	v_add_co_u32_e32 v10, vcc, s24, v20
	v_addc_co_u32_e32 v11, vcc, 0, v5, vcc
	v_cmp_gt_i64_e32 vcc, s[20:21], v[10:11]
	v_mov_b32_e32 v8, 0
	v_mov_b32_e32 v9, 0
	s_and_saveexec_b64 s[12:13], vcc
	s_cbranch_execz .LBB0_6
; %bb.5:                                ;   in Loop: Header=BB0_4 Depth=1
	global_load_dword v5, v[6:7], off
	v_add_co_u32_e32 v8, vcc, 1, v10
	v_addc_co_u32_e32 v9, vcc, 0, v11, vcc
	s_waitcnt vmcnt(0)
	v_cmp_gt_f32_e32 vcc, 0, v5
	s_waitcnt lgkmcnt(0)
	v_cndmask_b32_e64 v21, v5, -v5, vcc
.LBB0_6:                                ;   in Loop: Header=BB0_4 Depth=1
	s_or_b64 exec, exec, s[12:13]
	s_and_saveexec_b64 s[12:13], s[0:1]
	s_cbranch_execz .LBB0_8
; %bb.7:                                ;   in Loop: Header=BB0_4 Depth=1
	v_mov_b32_e32 v5, v4
	ds_write_b64 v12, v[4:5]
	ds_write_b32 v12, v4 offset:8
.LBB0_8:                                ;   in Loop: Header=BB0_4 Depth=1
	s_or_b64 exec, exec, s[12:13]
	ds_bpermute_b32 v10, v13, v8
	ds_bpermute_b32 v11, v13, v9
	s_waitcnt lgkmcnt(2)
	ds_bpermute_b32 v22, v13, v21
	v_mov_b32_e32 v5, v21
	s_waitcnt lgkmcnt(0)
	s_barrier
	v_cmp_ne_u64_e32 vcc, 0, v[10:11]
	s_and_saveexec_b64 s[14:15], vcc
	s_cbranch_execz .LBB0_12
; %bb.9:                                ;   in Loop: Header=BB0_4 Depth=1
	v_cmp_ne_u64_e32 vcc, 0, v[8:9]
	v_cmp_nlt_f32_e64 s[12:13], v21, v22
	s_and_b64 s[12:13], vcc, s[12:13]
	s_and_saveexec_b64 s[16:17], s[12:13]
; %bb.10:                               ;   in Loop: Header=BB0_4 Depth=1
	v_cmp_lt_i64_e32 vcc, v[10:11], v[8:9]
	v_cmp_eq_f32_e64 s[12:13], v21, v22
	v_cndmask_b32_e32 v5, v9, v11, vcc
	s_and_b64 vcc, s[12:13], vcc
	v_cndmask_b32_e64 v11, v9, v5, s[12:13]
	v_cndmask_b32_e32 v10, v8, v10, vcc
	v_mov_b32_e32 v22, v21
; %bb.11:                               ;   in Loop: Header=BB0_4 Depth=1
	s_or_b64 exec, exec, s[16:17]
	v_mov_b32_e32 v8, v10
	v_mov_b32_e32 v21, v22
	;; [unrolled: 1-line block ×4, first 2 shown]
.LBB0_12:                               ;   in Loop: Header=BB0_4 Depth=1
	s_or_b64 exec, exec, s[14:15]
	ds_bpermute_b32 v10, v14, v8
	ds_bpermute_b32 v11, v14, v9
	;; [unrolled: 1-line block ×3, first 2 shown]
	s_waitcnt lgkmcnt(1)
	v_cmp_ne_u64_e32 vcc, 0, v[10:11]
	s_and_saveexec_b64 s[14:15], vcc
	s_cbranch_execz .LBB0_16
; %bb.13:                               ;   in Loop: Header=BB0_4 Depth=1
	v_cmp_ne_u64_e32 vcc, 0, v[8:9]
	s_waitcnt lgkmcnt(0)
	v_cmp_nlt_f32_e64 s[12:13], v5, v22
	s_and_b64 s[12:13], vcc, s[12:13]
	v_mov_b32_e32 v23, v22
	s_and_saveexec_b64 s[16:17], s[12:13]
; %bb.14:                               ;   in Loop: Header=BB0_4 Depth=1
	v_cmp_lt_i64_e32 vcc, v[10:11], v[8:9]
	v_cmp_eq_f32_e64 s[12:13], v5, v22
	v_cndmask_b32_e32 v11, v9, v11, vcc
	s_and_b64 vcc, s[12:13], vcc
	v_cndmask_b32_e64 v11, v9, v11, s[12:13]
	v_cndmask_b32_e32 v10, v8, v10, vcc
	v_mov_b32_e32 v23, v5
	v_mov_b32_e32 v22, v21
; %bb.15:                               ;   in Loop: Header=BB0_4 Depth=1
	s_or_b64 exec, exec, s[16:17]
	v_mov_b32_e32 v8, v10
	v_mov_b32_e32 v21, v22
	v_mov_b32_e32 v9, v11
	v_mov_b32_e32 v5, v23
.LBB0_16:                               ;   in Loop: Header=BB0_4 Depth=1
	s_or_b64 exec, exec, s[14:15]
	ds_bpermute_b32 v10, v15, v8
	ds_bpermute_b32 v11, v15, v9
	s_waitcnt lgkmcnt(2)
	ds_bpermute_b32 v22, v15, v21
	s_waitcnt lgkmcnt(1)
	v_cmp_ne_u64_e32 vcc, 0, v[10:11]
	s_and_saveexec_b64 s[14:15], vcc
	s_cbranch_execz .LBB0_20
; %bb.17:                               ;   in Loop: Header=BB0_4 Depth=1
	v_cmp_ne_u64_e32 vcc, 0, v[8:9]
	s_waitcnt lgkmcnt(0)
	v_cmp_nlt_f32_e64 s[12:13], v5, v22
	s_and_b64 s[12:13], vcc, s[12:13]
	v_mov_b32_e32 v23, v22
	s_and_saveexec_b64 s[16:17], s[12:13]
; %bb.18:                               ;   in Loop: Header=BB0_4 Depth=1
	v_cmp_lt_i64_e32 vcc, v[10:11], v[8:9]
	v_cmp_eq_f32_e64 s[12:13], v5, v22
	v_cndmask_b32_e32 v11, v9, v11, vcc
	s_and_b64 vcc, s[12:13], vcc
	v_cndmask_b32_e64 v11, v9, v11, s[12:13]
	v_cndmask_b32_e32 v10, v8, v10, vcc
	v_mov_b32_e32 v23, v5
	v_mov_b32_e32 v22, v21
; %bb.19:                               ;   in Loop: Header=BB0_4 Depth=1
	s_or_b64 exec, exec, s[16:17]
	v_mov_b32_e32 v8, v10
	v_mov_b32_e32 v21, v22
	v_mov_b32_e32 v9, v11
	v_mov_b32_e32 v5, v23
.LBB0_20:                               ;   in Loop: Header=BB0_4 Depth=1
	s_or_b64 exec, exec, s[14:15]
	ds_bpermute_b32 v10, v16, v8
	ds_bpermute_b32 v11, v16, v9
	s_waitcnt lgkmcnt(2)
	ds_bpermute_b32 v22, v16, v21
	;; [unrolled: 32-line block ×3, first 2 shown]
	s_waitcnt lgkmcnt(1)
	v_cmp_ne_u64_e32 vcc, 0, v[10:11]
	s_and_saveexec_b64 s[14:15], vcc
	s_cbranch_execz .LBB0_28
; %bb.25:                               ;   in Loop: Header=BB0_4 Depth=1
	v_cmp_ne_u64_e32 vcc, 0, v[8:9]
	s_waitcnt lgkmcnt(0)
	v_cmp_nlt_f32_e64 s[12:13], v5, v22
	s_and_b64 s[12:13], vcc, s[12:13]
	v_mov_b32_e32 v23, v22
	s_and_saveexec_b64 s[16:17], s[12:13]
; %bb.26:                               ;   in Loop: Header=BB0_4 Depth=1
	v_cmp_lt_i64_e32 vcc, v[10:11], v[8:9]
	v_cmp_eq_f32_e64 s[12:13], v5, v22
	v_cndmask_b32_e32 v11, v9, v11, vcc
	s_and_b64 vcc, s[12:13], vcc
	v_cndmask_b32_e64 v11, v9, v11, s[12:13]
	v_cndmask_b32_e32 v10, v8, v10, vcc
	v_mov_b32_e32 v23, v5
	v_mov_b32_e32 v22, v21
; %bb.27:                               ;   in Loop: Header=BB0_4 Depth=1
	s_or_b64 exec, exec, s[16:17]
	v_mov_b32_e32 v8, v10
	v_mov_b32_e32 v21, v22
	;; [unrolled: 1-line block ×4, first 2 shown]
.LBB0_28:                               ;   in Loop: Header=BB0_4 Depth=1
	s_or_b64 exec, exec, s[14:15]
	ds_bpermute_b32 v10, v18, v8
	ds_bpermute_b32 v11, v18, v9
	;; [unrolled: 1-line block ×3, first 2 shown]
	s_waitcnt lgkmcnt(1)
	v_cmp_ne_u64_e32 vcc, 0, v[10:11]
	s_and_saveexec_b64 s[28:29], vcc
	s_cbranch_execz .LBB0_30
; %bb.29:                               ;   in Loop: Header=BB0_4 Depth=1
	v_cmp_eq_u64_e32 vcc, 0, v[8:9]
	v_cmp_lt_i64_e64 s[14:15], v[10:11], v[8:9]
	s_waitcnt lgkmcnt(0)
	v_cmp_lt_f32_e64 s[12:13], v5, v21
	v_cmp_eq_f32_e64 s[16:17], v5, v21
	s_and_b64 s[14:15], s[16:17], s[14:15]
	s_or_b64 vcc, vcc, s[12:13]
	v_cndmask_b32_e64 v9, v9, v11, s[14:15]
	s_or_b64 s[12:13], vcc, s[14:15]
	v_cndmask_b32_e32 v9, v9, v11, vcc
	v_cndmask_b32_e64 v8, v8, v10, s[12:13]
	v_cndmask_b32_e32 v5, v5, v21, vcc
.LBB0_30:                               ;   in Loop: Header=BB0_4 Depth=1
	s_or_b64 exec, exec, s[28:29]
	s_and_saveexec_b64 s[12:13], s[2:3]
	s_cbranch_execz .LBB0_32
; %bb.31:                               ;   in Loop: Header=BB0_4 Depth=1
	ds_write_b64 v19, v[8:9]
	ds_write_b32 v19, v5 offset:8
.LBB0_32:                               ;   in Loop: Header=BB0_4 Depth=1
	s_or_b64 exec, exec, s[12:13]
	v_mov_b32_e32 v8, 0
	v_mov_b32_e32 v9, 0
	s_waitcnt lgkmcnt(0)
	v_mov_b32_e32 v21, 0
	s_barrier
	s_and_saveexec_b64 s[12:13], s[8:9]
	s_cbranch_execz .LBB0_34
; %bb.33:                               ;   in Loop: Header=BB0_4 Depth=1
	ds_read_b64 v[8:9], v12
	ds_read_b32 v21, v12 offset:8
.LBB0_34:                               ;   in Loop: Header=BB0_4 Depth=1
	s_or_b64 exec, exec, s[12:13]
	s_and_saveexec_b64 s[28:29], s[0:1]
	s_cbranch_execz .LBB0_50
; %bb.35:                               ;   in Loop: Header=BB0_4 Depth=1
	s_waitcnt lgkmcnt(1)
	ds_bpermute_b32 v10, v15, v8
	ds_bpermute_b32 v11, v15, v9
	s_waitcnt lgkmcnt(2)
	ds_bpermute_b32 v22, v15, v21
	v_mov_b32_e32 v5, v21
	s_waitcnt lgkmcnt(1)
	v_cmp_ne_u64_e32 vcc, 0, v[10:11]
	s_and_saveexec_b64 s[14:15], vcc
	s_cbranch_execz .LBB0_39
; %bb.36:                               ;   in Loop: Header=BB0_4 Depth=1
	v_cmp_ne_u64_e32 vcc, 0, v[8:9]
	s_waitcnt lgkmcnt(0)
	v_cmp_nlt_f32_e64 s[12:13], v21, v22
	s_and_b64 s[12:13], vcc, s[12:13]
	s_and_saveexec_b64 s[16:17], s[12:13]
; %bb.37:                               ;   in Loop: Header=BB0_4 Depth=1
	v_cmp_lt_i64_e32 vcc, v[10:11], v[8:9]
	v_cmp_eq_f32_e64 s[12:13], v21, v22
	v_cndmask_b32_e32 v5, v9, v11, vcc
	s_and_b64 vcc, s[12:13], vcc
	v_cndmask_b32_e64 v11, v9, v5, s[12:13]
	v_cndmask_b32_e32 v10, v8, v10, vcc
	v_mov_b32_e32 v22, v21
; %bb.38:                               ;   in Loop: Header=BB0_4 Depth=1
	s_or_b64 exec, exec, s[16:17]
	v_mov_b32_e32 v8, v10
	v_mov_b32_e32 v21, v22
	;; [unrolled: 1-line block ×4, first 2 shown]
.LBB0_39:                               ;   in Loop: Header=BB0_4 Depth=1
	s_or_b64 exec, exec, s[14:15]
	ds_bpermute_b32 v10, v16, v8
	ds_bpermute_b32 v11, v16, v9
	s_waitcnt lgkmcnt(2)
	ds_bpermute_b32 v22, v16, v21
	s_waitcnt lgkmcnt(1)
	v_cmp_ne_u64_e32 vcc, 0, v[10:11]
	s_and_saveexec_b64 s[14:15], vcc
	s_cbranch_execz .LBB0_43
; %bb.40:                               ;   in Loop: Header=BB0_4 Depth=1
	v_cmp_ne_u64_e32 vcc, 0, v[8:9]
	s_waitcnt lgkmcnt(0)
	v_cmp_nlt_f32_e64 s[12:13], v5, v22
	s_and_b64 s[12:13], vcc, s[12:13]
	v_mov_b32_e32 v23, v22
	s_and_saveexec_b64 s[16:17], s[12:13]
; %bb.41:                               ;   in Loop: Header=BB0_4 Depth=1
	v_cmp_lt_i64_e32 vcc, v[10:11], v[8:9]
	v_cmp_eq_f32_e64 s[12:13], v5, v22
	v_cndmask_b32_e32 v11, v9, v11, vcc
	s_and_b64 vcc, s[12:13], vcc
	v_cndmask_b32_e64 v11, v9, v11, s[12:13]
	v_cndmask_b32_e32 v10, v8, v10, vcc
	v_mov_b32_e32 v23, v5
	v_mov_b32_e32 v22, v21
; %bb.42:                               ;   in Loop: Header=BB0_4 Depth=1
	s_or_b64 exec, exec, s[16:17]
	v_mov_b32_e32 v8, v10
	v_mov_b32_e32 v21, v22
	;; [unrolled: 1-line block ×4, first 2 shown]
.LBB0_43:                               ;   in Loop: Header=BB0_4 Depth=1
	s_or_b64 exec, exec, s[14:15]
	ds_bpermute_b32 v10, v17, v8
	ds_bpermute_b32 v11, v17, v9
	s_waitcnt lgkmcnt(2)
	ds_bpermute_b32 v22, v17, v21
	s_waitcnt lgkmcnt(1)
	v_cmp_ne_u64_e32 vcc, 0, v[10:11]
	s_and_saveexec_b64 s[14:15], vcc
	s_cbranch_execz .LBB0_47
; %bb.44:                               ;   in Loop: Header=BB0_4 Depth=1
	v_cmp_ne_u64_e32 vcc, 0, v[8:9]
	s_waitcnt lgkmcnt(0)
	v_cmp_nlt_f32_e64 s[12:13], v5, v22
	s_and_b64 s[12:13], vcc, s[12:13]
	v_mov_b32_e32 v23, v22
	s_and_saveexec_b64 s[16:17], s[12:13]
; %bb.45:                               ;   in Loop: Header=BB0_4 Depth=1
	v_cmp_lt_i64_e32 vcc, v[10:11], v[8:9]
	v_cmp_eq_f32_e64 s[12:13], v5, v22
	v_cndmask_b32_e32 v11, v9, v11, vcc
	s_and_b64 vcc, s[12:13], vcc
	v_cndmask_b32_e64 v11, v9, v11, s[12:13]
	v_cndmask_b32_e32 v10, v8, v10, vcc
	v_mov_b32_e32 v23, v5
	v_mov_b32_e32 v22, v21
; %bb.46:                               ;   in Loop: Header=BB0_4 Depth=1
	s_or_b64 exec, exec, s[16:17]
	v_mov_b32_e32 v8, v10
	v_mov_b32_e32 v21, v22
	;; [unrolled: 1-line block ×4, first 2 shown]
.LBB0_47:                               ;   in Loop: Header=BB0_4 Depth=1
	s_or_b64 exec, exec, s[14:15]
	ds_bpermute_b32 v10, v18, v8
	ds_bpermute_b32 v11, v18, v9
	;; [unrolled: 1-line block ×3, first 2 shown]
	s_waitcnt lgkmcnt(1)
	v_cmp_ne_u64_e32 vcc, 0, v[10:11]
	s_and_saveexec_b64 s[30:31], vcc
	s_cbranch_execz .LBB0_49
; %bb.48:                               ;   in Loop: Header=BB0_4 Depth=1
	v_cmp_eq_u64_e32 vcc, 0, v[8:9]
	v_cmp_lt_i64_e64 s[14:15], v[10:11], v[8:9]
	s_waitcnt lgkmcnt(0)
	v_cmp_lt_f32_e64 s[12:13], v5, v21
	v_cmp_eq_f32_e64 s[16:17], v5, v21
	s_and_b64 s[14:15], s[16:17], s[14:15]
	s_or_b64 vcc, vcc, s[12:13]
	v_cndmask_b32_e64 v9, v9, v11, s[14:15]
	s_or_b64 s[12:13], vcc, s[14:15]
	v_cndmask_b32_e32 v9, v9, v11, vcc
	v_cndmask_b32_e64 v8, v8, v10, s[12:13]
	v_cndmask_b32_e32 v5, v5, v21, vcc
.LBB0_49:                               ;   in Loop: Header=BB0_4 Depth=1
	s_or_b64 exec, exec, s[30:31]
	s_waitcnt lgkmcnt(0)
	v_mov_b32_e32 v21, v5
.LBB0_50:                               ;   in Loop: Header=BB0_4 Depth=1
	s_or_b64 exec, exec, s[28:29]
	s_waitcnt lgkmcnt(1)
	v_cmp_ne_u64_e32 vcc, 0, v[8:9]
	s_and_b64 s[12:13], s[26:27], vcc
	s_and_saveexec_b64 s[14:15], s[12:13]
	s_cbranch_execz .LBB0_3
; %bb.51:                               ;   in Loop: Header=BB0_4 Depth=1
	v_cmp_ne_u64_e32 vcc, 0, v[1:2]
	s_waitcnt lgkmcnt(0)
	v_cmp_ngt_f32_e64 s[12:13], v21, v3
	s_and_b64 s[12:13], vcc, s[12:13]
	v_mov_b32_e32 v5, v21
	s_and_saveexec_b64 s[16:17], s[12:13]
	s_cbranch_execz .LBB0_2
; %bb.52:                               ;   in Loop: Header=BB0_4 Depth=1
	v_cmp_lt_i64_e32 vcc, v[8:9], v[1:2]
	v_cmp_eq_f32_e64 s[12:13], v3, v21
	v_cndmask_b32_e32 v5, v2, v9, vcc
	s_and_b64 vcc, s[12:13], vcc
	v_cndmask_b32_e64 v9, v2, v5, s[12:13]
	v_cndmask_b32_e32 v8, v1, v8, vcc
	v_mov_b32_e32 v5, v3
	s_branch .LBB0_2
.LBB0_53:
	v_mov_b32_e32 v1, 0
	v_mov_b32_e32 v2, 0
.LBB0_54:
	s_mov_b32 s7, 0
	v_cmp_eq_u32_e32 vcc, 0, v0
	s_and_saveexec_b64 s[0:1], vcc
	s_cbranch_execz .LBB0_56
; %bb.55:
	s_load_dword s0, s[4:5], 0x30
	v_mov_b32_e32 v0, 0
	s_waitcnt lgkmcnt(0)
	s_mul_hi_u32 s1, s0, s10
	s_mul_i32 s0, s0, s10
	s_lshl_b64 s[0:1], s[0:1], 4
	s_add_u32 s2, s18, s0
	s_addc_u32 s3, s19, s1
	s_lshl_b64 s[0:1], s[6:7], 4
	s_add_u32 s0, s2, s0
	s_addc_u32 s1, s3, s1
	global_store_dwordx3 v0, v[1:3], s[0:1]
.LBB0_56:
	s_endpgm
	.section	.rodata,"a",@progbits
	.p2align	6, 0x0
	.amdhsa_kernel _ZL35rocblas_iamax_iamin_kernel_part1_64ILi1024E26rocblas_fetch_amax_amin_64IfE22rocblas_reduce_amax_64PKf24rocblas_index_64_value_tIfEEvlT2_lllPT3_
		.amdhsa_group_segment_fixed_size 1024
		.amdhsa_private_segment_fixed_size 0
		.amdhsa_kernarg_size 304
		.amdhsa_user_sgpr_count 6
		.amdhsa_user_sgpr_private_segment_buffer 1
		.amdhsa_user_sgpr_dispatch_ptr 0
		.amdhsa_user_sgpr_queue_ptr 0
		.amdhsa_user_sgpr_kernarg_segment_ptr 1
		.amdhsa_user_sgpr_dispatch_id 0
		.amdhsa_user_sgpr_flat_scratch_init 0
		.amdhsa_user_sgpr_private_segment_size 0
		.amdhsa_uses_dynamic_stack 0
		.amdhsa_system_sgpr_private_segment_wavefront_offset 0
		.amdhsa_system_sgpr_workgroup_id_x 1
		.amdhsa_system_sgpr_workgroup_id_y 0
		.amdhsa_system_sgpr_workgroup_id_z 1
		.amdhsa_system_sgpr_workgroup_info 0
		.amdhsa_system_vgpr_workitem_id 0
		.amdhsa_next_free_vgpr 24
		.amdhsa_next_free_sgpr 32
		.amdhsa_reserve_vcc 1
		.amdhsa_reserve_flat_scratch 0
		.amdhsa_float_round_mode_32 0
		.amdhsa_float_round_mode_16_64 0
		.amdhsa_float_denorm_mode_32 3
		.amdhsa_float_denorm_mode_16_64 3
		.amdhsa_dx10_clamp 1
		.amdhsa_ieee_mode 1
		.amdhsa_fp16_overflow 0
		.amdhsa_exception_fp_ieee_invalid_op 0
		.amdhsa_exception_fp_denorm_src 0
		.amdhsa_exception_fp_ieee_div_zero 0
		.amdhsa_exception_fp_ieee_overflow 0
		.amdhsa_exception_fp_ieee_underflow 0
		.amdhsa_exception_fp_ieee_inexact 0
		.amdhsa_exception_int_div_zero 0
	.end_amdhsa_kernel
	.section	.text._ZL35rocblas_iamax_iamin_kernel_part1_64ILi1024E26rocblas_fetch_amax_amin_64IfE22rocblas_reduce_amax_64PKf24rocblas_index_64_value_tIfEEvlT2_lllPT3_,"axG",@progbits,_ZL35rocblas_iamax_iamin_kernel_part1_64ILi1024E26rocblas_fetch_amax_amin_64IfE22rocblas_reduce_amax_64PKf24rocblas_index_64_value_tIfEEvlT2_lllPT3_,comdat
.Lfunc_end0:
	.size	_ZL35rocblas_iamax_iamin_kernel_part1_64ILi1024E26rocblas_fetch_amax_amin_64IfE22rocblas_reduce_amax_64PKf24rocblas_index_64_value_tIfEEvlT2_lllPT3_, .Lfunc_end0-_ZL35rocblas_iamax_iamin_kernel_part1_64ILi1024E26rocblas_fetch_amax_amin_64IfE22rocblas_reduce_amax_64PKf24rocblas_index_64_value_tIfEEvlT2_lllPT3_
                                        ; -- End function
	.set _ZL35rocblas_iamax_iamin_kernel_part1_64ILi1024E26rocblas_fetch_amax_amin_64IfE22rocblas_reduce_amax_64PKf24rocblas_index_64_value_tIfEEvlT2_lllPT3_.num_vgpr, 24
	.set _ZL35rocblas_iamax_iamin_kernel_part1_64ILi1024E26rocblas_fetch_amax_amin_64IfE22rocblas_reduce_amax_64PKf24rocblas_index_64_value_tIfEEvlT2_lllPT3_.num_agpr, 0
	.set _ZL35rocblas_iamax_iamin_kernel_part1_64ILi1024E26rocblas_fetch_amax_amin_64IfE22rocblas_reduce_amax_64PKf24rocblas_index_64_value_tIfEEvlT2_lllPT3_.numbered_sgpr, 32
	.set _ZL35rocblas_iamax_iamin_kernel_part1_64ILi1024E26rocblas_fetch_amax_amin_64IfE22rocblas_reduce_amax_64PKf24rocblas_index_64_value_tIfEEvlT2_lllPT3_.num_named_barrier, 0
	.set _ZL35rocblas_iamax_iamin_kernel_part1_64ILi1024E26rocblas_fetch_amax_amin_64IfE22rocblas_reduce_amax_64PKf24rocblas_index_64_value_tIfEEvlT2_lllPT3_.private_seg_size, 0
	.set _ZL35rocblas_iamax_iamin_kernel_part1_64ILi1024E26rocblas_fetch_amax_amin_64IfE22rocblas_reduce_amax_64PKf24rocblas_index_64_value_tIfEEvlT2_lllPT3_.uses_vcc, 1
	.set _ZL35rocblas_iamax_iamin_kernel_part1_64ILi1024E26rocblas_fetch_amax_amin_64IfE22rocblas_reduce_amax_64PKf24rocblas_index_64_value_tIfEEvlT2_lllPT3_.uses_flat_scratch, 0
	.set _ZL35rocblas_iamax_iamin_kernel_part1_64ILi1024E26rocblas_fetch_amax_amin_64IfE22rocblas_reduce_amax_64PKf24rocblas_index_64_value_tIfEEvlT2_lllPT3_.has_dyn_sized_stack, 0
	.set _ZL35rocblas_iamax_iamin_kernel_part1_64ILi1024E26rocblas_fetch_amax_amin_64IfE22rocblas_reduce_amax_64PKf24rocblas_index_64_value_tIfEEvlT2_lllPT3_.has_recursion, 0
	.set _ZL35rocblas_iamax_iamin_kernel_part1_64ILi1024E26rocblas_fetch_amax_amin_64IfE22rocblas_reduce_amax_64PKf24rocblas_index_64_value_tIfEEvlT2_lllPT3_.has_indirect_call, 0
	.section	.AMDGPU.csdata,"",@progbits
; Kernel info:
; codeLenInByte = 2112
; TotalNumSgprs: 36
; NumVgprs: 24
; ScratchSize: 0
; MemoryBound: 0
; FloatMode: 240
; IeeeMode: 1
; LDSByteSize: 1024 bytes/workgroup (compile time only)
; SGPRBlocks: 4
; VGPRBlocks: 5
; NumSGPRsForWavesPerEU: 36
; NumVGPRsForWavesPerEU: 24
; Occupancy: 10
; WaveLimiterHint : 0
; COMPUTE_PGM_RSRC2:SCRATCH_EN: 0
; COMPUTE_PGM_RSRC2:USER_SGPR: 6
; COMPUTE_PGM_RSRC2:TRAP_HANDLER: 0
; COMPUTE_PGM_RSRC2:TGID_X_EN: 1
; COMPUTE_PGM_RSRC2:TGID_Y_EN: 0
; COMPUTE_PGM_RSRC2:TGID_Z_EN: 1
; COMPUTE_PGM_RSRC2:TIDIG_COMP_CNT: 0
	.section	.text._ZL35rocblas_iamax_iamin_kernel_part2_64ILi1024E22rocblas_reduce_amax_6424rocblas_index_64_value_tIfElEviPT1_PT2_,"axG",@progbits,_ZL35rocblas_iamax_iamin_kernel_part2_64ILi1024E22rocblas_reduce_amax_6424rocblas_index_64_value_tIfElEviPT1_PT2_,comdat
	.globl	_ZL35rocblas_iamax_iamin_kernel_part2_64ILi1024E22rocblas_reduce_amax_6424rocblas_index_64_value_tIfElEviPT1_PT2_ ; -- Begin function _ZL35rocblas_iamax_iamin_kernel_part2_64ILi1024E22rocblas_reduce_amax_6424rocblas_index_64_value_tIfElEviPT1_PT2_
	.p2align	8
	.type	_ZL35rocblas_iamax_iamin_kernel_part2_64ILi1024E22rocblas_reduce_amax_6424rocblas_index_64_value_tIfElEviPT1_PT2_,@function
_ZL35rocblas_iamax_iamin_kernel_part2_64ILi1024E22rocblas_reduce_amax_6424rocblas_index_64_value_tIfElEviPT1_PT2_: ; @_ZL35rocblas_iamax_iamin_kernel_part2_64ILi1024E22rocblas_reduce_amax_6424rocblas_index_64_value_tIfElEviPT1_PT2_
; %bb.0:
	s_load_dword s7, s[4:5], 0x0
	s_load_dwordx4 s[8:11], s[4:5], 0x8
	v_mov_b32_e32 v1, 0
	v_mov_b32_e32 v2, 0
	s_waitcnt lgkmcnt(0)
	v_cmp_gt_i32_e32 vcc, s7, v0
	s_and_saveexec_b64 s[2:3], vcc
	s_cbranch_execz .LBB1_10
; %bb.1:
	s_mul_hi_u32 s1, s7, s6
	s_mul_i32 s0, s7, s6
	s_lshl_b64 s[0:1], s[0:1], 4
	s_add_u32 s4, s8, s0
	s_addc_u32 s5, s9, s1
	v_lshlrev_b32_e32 v4, 4, v0
	global_load_dwordx3 v[1:3], v4, s[4:5]
	v_or_b32_e32 v8, 0x400, v0
	v_cmp_gt_u32_e32 vcc, s7, v8
	s_and_saveexec_b64 s[4:5], vcc
	s_cbranch_execz .LBB1_9
; %bb.2:
	s_add_u32 s0, s8, s0
	s_addc_u32 s1, s9, s1
	v_mov_b32_e32 v5, s1
	v_add_co_u32_e32 v4, vcc, s0, v4
	v_addc_co_u32_e32 v5, vcc, 0, v5, vcc
	v_add_co_u32_e32 v4, vcc, 0x4008, v4
	v_addc_co_u32_e32 v5, vcc, 0, v5, vcc
	s_mov_b64 s[8:9], 0
	s_branch .LBB1_5
.LBB1_3:                                ;   in Loop: Header=BB1_5 Depth=1
	s_or_b64 exec, exec, s[14:15]
	v_mov_b32_e32 v1, v6
	v_mov_b32_e32 v2, v7
	;; [unrolled: 1-line block ×3, first 2 shown]
.LBB1_4:                                ;   in Loop: Header=BB1_5 Depth=1
	s_or_b64 exec, exec, s[12:13]
	v_add_u32_e32 v8, 0x400, v8
	v_add_co_u32_e32 v4, vcc, 0x4000, v4
	v_cmp_le_i32_e64 s[0:1], s7, v8
	s_or_b64 s[8:9], s[0:1], s[8:9]
	v_addc_co_u32_e32 v5, vcc, 0, v5, vcc
	s_andn2_b64 exec, exec, s[8:9]
	s_cbranch_execz .LBB1_8
.LBB1_5:                                ; =>This Inner Loop Header: Depth=1
	global_load_dwordx2 v[6:7], v[4:5], off offset:-8
	s_waitcnt vmcnt(0)
	v_cmp_ne_u64_e32 vcc, 0, v[6:7]
	s_and_saveexec_b64 s[12:13], vcc
	s_cbranch_execz .LBB1_4
; %bb.6:                                ;   in Loop: Header=BB1_5 Depth=1
	global_load_dword v9, v[4:5], off
	v_cmp_ne_u64_e32 vcc, 0, v[1:2]
	s_waitcnt vmcnt(0)
	v_cmp_ngt_f32_e64 s[0:1], v9, v3
	s_and_b64 s[0:1], vcc, s[0:1]
	s_and_saveexec_b64 s[14:15], s[0:1]
	s_cbranch_execz .LBB1_3
; %bb.7:                                ;   in Loop: Header=BB1_5 Depth=1
	v_cmp_lt_i64_e32 vcc, v[6:7], v[1:2]
	v_cmp_eq_f32_e64 s[0:1], v3, v9
	v_cndmask_b32_e32 v7, v2, v7, vcc
	s_and_b64 vcc, s[0:1], vcc
	v_cndmask_b32_e64 v7, v2, v7, s[0:1]
	v_cndmask_b32_e32 v6, v1, v6, vcc
	v_mov_b32_e32 v9, v3
	s_branch .LBB1_3
.LBB1_8:
	s_or_b64 exec, exec, s[8:9]
.LBB1_9:
	s_or_b64 exec, exec, s[4:5]
.LBB1_10:
	s_or_b64 exec, exec, s[2:3]
	v_and_b32_e32 v7, 63, v0
	v_cmp_gt_u32_e32 vcc, 64, v0
	v_lshlrev_b32_e32 v6, 4, v7
	s_and_saveexec_b64 s[0:1], vcc
	s_cbranch_execz .LBB1_12
; %bb.11:
	v_mov_b32_e32 v4, 0
	v_mov_b32_e32 v5, v4
	ds_write_b64 v6, v[4:5]
	ds_write_b32 v6, v4 offset:8
.LBB1_12:
	s_or_b64 exec, exec, s[0:1]
	v_mbcnt_lo_u32_b32 v4, -1, 0
	v_mbcnt_hi_u32_b32 v8, -1, v4
	v_mov_b32_e32 v4, 0x80
	v_lshl_or_b32 v9, v8, 2, v4
	s_waitcnt vmcnt(0)
	ds_bpermute_b32 v4, v9, v1
	ds_bpermute_b32 v5, v9, v2
	;; [unrolled: 1-line block ×3, first 2 shown]
	v_mov_b32_e32 v9, v3
	s_waitcnt lgkmcnt(0)
	s_barrier
	v_cmp_ne_u64_e64 s[0:1], 0, v[4:5]
	s_and_saveexec_b64 s[4:5], s[0:1]
	s_cbranch_execz .LBB1_16
; %bb.13:
	v_cmp_ne_u64_e64 s[0:1], 0, v[1:2]
	v_cmp_nlt_f32_e64 s[2:3], v3, v10
	s_and_b64 s[0:1], s[0:1], s[2:3]
	v_mov_b32_e32 v9, v10
	s_and_saveexec_b64 s[8:9], s[0:1]
; %bb.14:
	v_cmp_lt_i64_e64 s[0:1], v[4:5], v[1:2]
	v_cmp_eq_f32_e64 s[2:3], v3, v10
	v_cndmask_b32_e64 v5, v2, v5, s[0:1]
	s_and_b64 s[0:1], s[2:3], s[0:1]
	v_cndmask_b32_e64 v5, v2, v5, s[2:3]
	v_cndmask_b32_e64 v4, v1, v4, s[0:1]
	v_mov_b32_e32 v9, v3
	v_mov_b32_e32 v10, v3
; %bb.15:
	s_or_b64 exec, exec, s[8:9]
	v_mov_b32_e32 v1, v4
	v_mov_b32_e32 v3, v10
	;; [unrolled: 1-line block ×3, first 2 shown]
.LBB1_16:
	s_or_b64 exec, exec, s[4:5]
	v_and_b32_e32 v13, 63, v8
	v_cmp_gt_u32_e64 s[0:1], 48, v13
	v_cndmask_b32_e64 v4, 0, 16, s[0:1]
	v_add_lshl_u32 v10, v4, v8, 2
	ds_bpermute_b32 v4, v10, v1
	ds_bpermute_b32 v5, v10, v2
	ds_bpermute_b32 v10, v10, v3
	s_waitcnt lgkmcnt(1)
	v_cmp_ne_u64_e64 s[0:1], 0, v[4:5]
	s_and_saveexec_b64 s[4:5], s[0:1]
	s_cbranch_execz .LBB1_20
; %bb.17:
	v_cmp_ne_u64_e64 s[0:1], 0, v[1:2]
	s_waitcnt lgkmcnt(0)
	v_cmp_nlt_f32_e64 s[2:3], v9, v10
	s_and_b64 s[0:1], s[0:1], s[2:3]
	v_mov_b32_e32 v11, v10
	s_and_saveexec_b64 s[8:9], s[0:1]
; %bb.18:
	v_cmp_lt_i64_e64 s[0:1], v[4:5], v[1:2]
	v_cmp_eq_f32_e64 s[2:3], v9, v10
	v_cndmask_b32_e64 v5, v2, v5, s[0:1]
	s_and_b64 s[0:1], s[2:3], s[0:1]
	v_cndmask_b32_e64 v5, v2, v5, s[2:3]
	v_cndmask_b32_e64 v4, v1, v4, s[0:1]
	v_mov_b32_e32 v11, v9
	v_mov_b32_e32 v10, v3
; %bb.19:
	s_or_b64 exec, exec, s[8:9]
	v_mov_b32_e32 v1, v4
	v_mov_b32_e32 v3, v10
	v_mov_b32_e32 v2, v5
	v_mov_b32_e32 v9, v11
.LBB1_20:
	s_or_b64 exec, exec, s[4:5]
	v_cmp_gt_u32_e64 s[0:1], 56, v13
	v_cndmask_b32_e64 v4, 0, 8, s[0:1]
	s_waitcnt lgkmcnt(0)
	v_add_lshl_u32 v10, v4, v8, 2
	ds_bpermute_b32 v4, v10, v1
	ds_bpermute_b32 v5, v10, v2
	ds_bpermute_b32 v11, v10, v3
	s_waitcnt lgkmcnt(1)
	v_cmp_ne_u64_e64 s[0:1], 0, v[4:5]
	s_and_saveexec_b64 s[4:5], s[0:1]
	s_cbranch_execz .LBB1_24
; %bb.21:
	v_cmp_ne_u64_e64 s[0:1], 0, v[1:2]
	s_waitcnt lgkmcnt(0)
	v_cmp_nlt_f32_e64 s[2:3], v9, v11
	s_and_b64 s[0:1], s[0:1], s[2:3]
	v_mov_b32_e32 v12, v11
	s_and_saveexec_b64 s[8:9], s[0:1]
; %bb.22:
	v_cmp_lt_i64_e64 s[0:1], v[4:5], v[1:2]
	v_cmp_eq_f32_e64 s[2:3], v9, v11
	v_cndmask_b32_e64 v5, v2, v5, s[0:1]
	s_and_b64 s[0:1], s[2:3], s[0:1]
	v_cndmask_b32_e64 v5, v2, v5, s[2:3]
	v_cndmask_b32_e64 v4, v1, v4, s[0:1]
	v_mov_b32_e32 v12, v9
	v_mov_b32_e32 v11, v3
; %bb.23:
	s_or_b64 exec, exec, s[8:9]
	v_mov_b32_e32 v1, v4
	v_mov_b32_e32 v3, v11
	v_mov_b32_e32 v2, v5
	v_mov_b32_e32 v9, v12
.LBB1_24:
	s_or_b64 exec, exec, s[4:5]
	v_cmp_gt_u32_e64 s[0:1], 60, v13
	v_cndmask_b32_e64 v4, 0, 4, s[0:1]
	s_waitcnt lgkmcnt(0)
	;; [unrolled: 35-line block ×3, first 2 shown]
	v_add_lshl_u32 v12, v4, v8, 2
	ds_bpermute_b32 v4, v12, v1
	ds_bpermute_b32 v5, v12, v2
	;; [unrolled: 1-line block ×3, first 2 shown]
	s_waitcnt lgkmcnt(1)
	v_cmp_ne_u64_e64 s[0:1], 0, v[4:5]
	s_and_saveexec_b64 s[4:5], s[0:1]
	s_cbranch_execz .LBB1_32
; %bb.29:
	v_cmp_ne_u64_e64 s[0:1], 0, v[1:2]
	s_waitcnt lgkmcnt(0)
	v_cmp_nlt_f32_e64 s[2:3], v9, v14
	s_and_b64 s[0:1], s[0:1], s[2:3]
	v_mov_b32_e32 v15, v14
	s_and_saveexec_b64 s[8:9], s[0:1]
; %bb.30:
	v_cmp_lt_i64_e64 s[0:1], v[4:5], v[1:2]
	v_cmp_eq_f32_e64 s[2:3], v9, v14
	v_cndmask_b32_e64 v5, v2, v5, s[0:1]
	s_and_b64 s[0:1], s[2:3], s[0:1]
	v_cndmask_b32_e64 v5, v2, v5, s[2:3]
	v_cndmask_b32_e64 v4, v1, v4, s[0:1]
	v_mov_b32_e32 v15, v9
	v_mov_b32_e32 v14, v3
; %bb.31:
	s_or_b64 exec, exec, s[8:9]
	v_mov_b32_e32 v1, v4
	v_mov_b32_e32 v3, v14
	;; [unrolled: 1-line block ×4, first 2 shown]
.LBB1_32:
	s_or_b64 exec, exec, s[4:5]
	v_cmp_ne_u32_e64 s[0:1], 63, v13
	v_addc_co_u32_e64 v4, s[0:1], 0, v8, s[0:1]
	v_lshlrev_b32_e32 v8, 2, v4
	ds_bpermute_b32 v4, v8, v1
	ds_bpermute_b32 v5, v8, v2
	;; [unrolled: 1-line block ×3, first 2 shown]
	s_waitcnt lgkmcnt(1)
	v_cmp_ne_u64_e64 s[0:1], 0, v[4:5]
	s_and_saveexec_b64 s[12:13], s[0:1]
	s_cbranch_execz .LBB1_34
; %bb.33:
	v_cmp_eq_u64_e64 s[0:1], 0, v[1:2]
	v_cmp_lt_i64_e64 s[4:5], v[4:5], v[1:2]
	s_waitcnt lgkmcnt(0)
	v_cmp_lt_f32_e64 s[2:3], v9, v3
	v_cmp_eq_f32_e64 s[8:9], v9, v3
	s_and_b64 s[4:5], s[8:9], s[4:5]
	s_or_b64 s[0:1], s[0:1], s[2:3]
	v_cndmask_b32_e64 v2, v2, v5, s[4:5]
	s_or_b64 s[2:3], s[0:1], s[4:5]
	v_cndmask_b32_e64 v2, v2, v5, s[0:1]
	v_cndmask_b32_e64 v1, v1, v4, s[2:3]
	;; [unrolled: 1-line block ×3, first 2 shown]
.LBB1_34:
	s_or_b64 exec, exec, s[12:13]
	v_cmp_eq_u32_e64 s[0:1], 0, v7
	s_and_saveexec_b64 s[2:3], s[0:1]
	s_cbranch_execz .LBB1_36
; %bb.35:
	s_waitcnt lgkmcnt(0)
	v_lshrrev_b32_e32 v3, 2, v0
	v_and_b32_e32 v3, 0xf0, v3
	ds_write_b64 v3, v[1:2]
	ds_write_b32 v3, v9 offset:8
.LBB1_36:
	s_or_b64 exec, exec, s[2:3]
	v_mov_b32_e32 v1, 0
	v_cmp_gt_u32_e64 s[0:1], 16, v0
	v_mov_b32_e32 v2, 0
	v_mov_b32_e32 v5, 0
	s_waitcnt lgkmcnt(0)
	s_barrier
	s_and_saveexec_b64 s[2:3], s[0:1]
	s_cbranch_execz .LBB1_38
; %bb.37:
	ds_read_b64 v[1:2], v6
	ds_read_b32 v5, v6 offset:8
.LBB1_38:
	s_or_b64 exec, exec, s[2:3]
	s_and_saveexec_b64 s[8:9], vcc
	s_cbranch_execz .LBB1_54
; %bb.39:
	s_waitcnt lgkmcnt(1)
	ds_bpermute_b32 v3, v10, v1
	ds_bpermute_b32 v4, v10, v2
	s_waitcnt lgkmcnt(2)
	ds_bpermute_b32 v7, v10, v5
	v_mov_b32_e32 v6, v5
	s_waitcnt lgkmcnt(1)
	v_cmp_ne_u64_e32 vcc, 0, v[3:4]
	s_and_saveexec_b64 s[2:3], vcc
	s_cbranch_execz .LBB1_43
; %bb.40:
	v_cmp_ne_u64_e32 vcc, 0, v[1:2]
	s_waitcnt lgkmcnt(0)
	v_cmp_nlt_f32_e64 s[0:1], v5, v7
	s_and_b64 s[0:1], vcc, s[0:1]
	s_and_saveexec_b64 s[4:5], s[0:1]
; %bb.41:
	v_cmp_lt_i64_e32 vcc, v[3:4], v[1:2]
	v_cmp_eq_f32_e64 s[0:1], v5, v7
	v_cndmask_b32_e32 v4, v2, v4, vcc
	s_and_b64 vcc, s[0:1], vcc
	v_cndmask_b32_e64 v4, v2, v4, s[0:1]
	v_cndmask_b32_e32 v3, v1, v3, vcc
	v_mov_b32_e32 v7, v5
; %bb.42:
	s_or_b64 exec, exec, s[4:5]
	v_mov_b32_e32 v1, v3
	v_mov_b32_e32 v5, v7
	;; [unrolled: 1-line block ×4, first 2 shown]
.LBB1_43:
	s_or_b64 exec, exec, s[2:3]
	ds_bpermute_b32 v3, v11, v1
	ds_bpermute_b32 v4, v11, v2
	s_waitcnt lgkmcnt(2)
	ds_bpermute_b32 v7, v11, v5
	s_waitcnt lgkmcnt(1)
	v_cmp_ne_u64_e32 vcc, 0, v[3:4]
	s_and_saveexec_b64 s[2:3], vcc
	s_cbranch_execz .LBB1_47
; %bb.44:
	v_cmp_ne_u64_e32 vcc, 0, v[1:2]
	s_waitcnt lgkmcnt(0)
	v_cmp_nlt_f32_e64 s[0:1], v6, v7
	s_and_b64 s[0:1], vcc, s[0:1]
	v_mov_b32_e32 v9, v7
	s_and_saveexec_b64 s[4:5], s[0:1]
; %bb.45:
	v_cmp_lt_i64_e32 vcc, v[3:4], v[1:2]
	v_cmp_eq_f32_e64 s[0:1], v6, v7
	v_cndmask_b32_e32 v4, v2, v4, vcc
	s_and_b64 vcc, s[0:1], vcc
	v_cndmask_b32_e64 v4, v2, v4, s[0:1]
	v_cndmask_b32_e32 v3, v1, v3, vcc
	v_mov_b32_e32 v9, v6
	v_mov_b32_e32 v7, v5
; %bb.46:
	s_or_b64 exec, exec, s[4:5]
	v_mov_b32_e32 v1, v3
	v_mov_b32_e32 v5, v7
	;; [unrolled: 1-line block ×4, first 2 shown]
.LBB1_47:
	s_or_b64 exec, exec, s[2:3]
	ds_bpermute_b32 v3, v12, v1
	ds_bpermute_b32 v4, v12, v2
	s_waitcnt lgkmcnt(2)
	ds_bpermute_b32 v7, v12, v5
	s_waitcnt lgkmcnt(1)
	v_cmp_ne_u64_e32 vcc, 0, v[3:4]
	s_and_saveexec_b64 s[2:3], vcc
	s_cbranch_execz .LBB1_51
; %bb.48:
	v_cmp_ne_u64_e32 vcc, 0, v[1:2]
	s_waitcnt lgkmcnt(0)
	v_cmp_nlt_f32_e64 s[0:1], v6, v7
	s_and_b64 s[0:1], vcc, s[0:1]
	v_mov_b32_e32 v9, v7
	s_and_saveexec_b64 s[4:5], s[0:1]
; %bb.49:
	v_cmp_lt_i64_e32 vcc, v[3:4], v[1:2]
	v_cmp_eq_f32_e64 s[0:1], v6, v7
	v_cndmask_b32_e32 v4, v2, v4, vcc
	s_and_b64 vcc, s[0:1], vcc
	v_cndmask_b32_e64 v4, v2, v4, s[0:1]
	v_cndmask_b32_e32 v3, v1, v3, vcc
	v_mov_b32_e32 v9, v6
	v_mov_b32_e32 v7, v5
; %bb.50:
	s_or_b64 exec, exec, s[4:5]
	v_mov_b32_e32 v1, v3
	v_mov_b32_e32 v5, v7
	v_mov_b32_e32 v2, v4
	v_mov_b32_e32 v6, v9
.LBB1_51:
	s_or_b64 exec, exec, s[2:3]
	ds_bpermute_b32 v3, v8, v1
	ds_bpermute_b32 v4, v8, v2
	;; [unrolled: 1-line block ×3, first 2 shown]
	s_waitcnt lgkmcnt(1)
	v_cmp_ne_u64_e32 vcc, 0, v[3:4]
	s_and_saveexec_b64 s[12:13], vcc
	s_cbranch_execz .LBB1_53
; %bb.52:
	v_cmp_lt_i64_e64 s[2:3], v[3:4], v[1:2]
	v_cmp_eq_u64_e32 vcc, 0, v[1:2]
	s_waitcnt lgkmcnt(0)
	v_cmp_eq_f32_e64 s[4:5], v6, v5
	v_cmp_lt_f32_e64 s[0:1], v6, v5
	s_and_b64 s[2:3], s[4:5], s[2:3]
	v_cndmask_b32_e64 v2, v2, v4, s[2:3]
	s_or_b64 vcc, vcc, s[0:1]
	v_cndmask_b32_e32 v2, v2, v4, vcc
	s_or_b64 vcc, vcc, s[2:3]
	v_cndmask_b32_e32 v1, v1, v3, vcc
.LBB1_53:
	s_or_b64 exec, exec, s[12:13]
.LBB1_54:
	s_or_b64 exec, exec, s[8:9]
	s_mov_b32 s7, 0
	v_cmp_eq_u32_e32 vcc, 0, v0
	s_and_saveexec_b64 s[0:1], vcc
	s_cbranch_execz .LBB1_56
; %bb.55:
	s_lshl_b64 s[0:1], s[6:7], 3
	s_add_u32 s0, s10, s0
	s_addc_u32 s1, s11, s1
	v_mov_b32_e32 v0, 0
	s_waitcnt lgkmcnt(1)
	global_store_dwordx2 v0, v[1:2], s[0:1]
.LBB1_56:
	s_endpgm
	.section	.rodata,"a",@progbits
	.p2align	6, 0x0
	.amdhsa_kernel _ZL35rocblas_iamax_iamin_kernel_part2_64ILi1024E22rocblas_reduce_amax_6424rocblas_index_64_value_tIfElEviPT1_PT2_
		.amdhsa_group_segment_fixed_size 1024
		.amdhsa_private_segment_fixed_size 0
		.amdhsa_kernarg_size 24
		.amdhsa_user_sgpr_count 6
		.amdhsa_user_sgpr_private_segment_buffer 1
		.amdhsa_user_sgpr_dispatch_ptr 0
		.amdhsa_user_sgpr_queue_ptr 0
		.amdhsa_user_sgpr_kernarg_segment_ptr 1
		.amdhsa_user_sgpr_dispatch_id 0
		.amdhsa_user_sgpr_flat_scratch_init 0
		.amdhsa_user_sgpr_private_segment_size 0
		.amdhsa_uses_dynamic_stack 0
		.amdhsa_system_sgpr_private_segment_wavefront_offset 0
		.amdhsa_system_sgpr_workgroup_id_x 1
		.amdhsa_system_sgpr_workgroup_id_y 0
		.amdhsa_system_sgpr_workgroup_id_z 0
		.amdhsa_system_sgpr_workgroup_info 0
		.amdhsa_system_vgpr_workitem_id 0
		.amdhsa_next_free_vgpr 16
		.amdhsa_next_free_sgpr 16
		.amdhsa_reserve_vcc 1
		.amdhsa_reserve_flat_scratch 0
		.amdhsa_float_round_mode_32 0
		.amdhsa_float_round_mode_16_64 0
		.amdhsa_float_denorm_mode_32 3
		.amdhsa_float_denorm_mode_16_64 3
		.amdhsa_dx10_clamp 1
		.amdhsa_ieee_mode 1
		.amdhsa_fp16_overflow 0
		.amdhsa_exception_fp_ieee_invalid_op 0
		.amdhsa_exception_fp_denorm_src 0
		.amdhsa_exception_fp_ieee_div_zero 0
		.amdhsa_exception_fp_ieee_overflow 0
		.amdhsa_exception_fp_ieee_underflow 0
		.amdhsa_exception_fp_ieee_inexact 0
		.amdhsa_exception_int_div_zero 0
	.end_amdhsa_kernel
	.section	.text._ZL35rocblas_iamax_iamin_kernel_part2_64ILi1024E22rocblas_reduce_amax_6424rocblas_index_64_value_tIfElEviPT1_PT2_,"axG",@progbits,_ZL35rocblas_iamax_iamin_kernel_part2_64ILi1024E22rocblas_reduce_amax_6424rocblas_index_64_value_tIfElEviPT1_PT2_,comdat
.Lfunc_end1:
	.size	_ZL35rocblas_iamax_iamin_kernel_part2_64ILi1024E22rocblas_reduce_amax_6424rocblas_index_64_value_tIfElEviPT1_PT2_, .Lfunc_end1-_ZL35rocblas_iamax_iamin_kernel_part2_64ILi1024E22rocblas_reduce_amax_6424rocblas_index_64_value_tIfElEviPT1_PT2_
                                        ; -- End function
	.set _ZL35rocblas_iamax_iamin_kernel_part2_64ILi1024E22rocblas_reduce_amax_6424rocblas_index_64_value_tIfElEviPT1_PT2_.num_vgpr, 16
	.set _ZL35rocblas_iamax_iamin_kernel_part2_64ILi1024E22rocblas_reduce_amax_6424rocblas_index_64_value_tIfElEviPT1_PT2_.num_agpr, 0
	.set _ZL35rocblas_iamax_iamin_kernel_part2_64ILi1024E22rocblas_reduce_amax_6424rocblas_index_64_value_tIfElEviPT1_PT2_.numbered_sgpr, 16
	.set _ZL35rocblas_iamax_iamin_kernel_part2_64ILi1024E22rocblas_reduce_amax_6424rocblas_index_64_value_tIfElEviPT1_PT2_.num_named_barrier, 0
	.set _ZL35rocblas_iamax_iamin_kernel_part2_64ILi1024E22rocblas_reduce_amax_6424rocblas_index_64_value_tIfElEviPT1_PT2_.private_seg_size, 0
	.set _ZL35rocblas_iamax_iamin_kernel_part2_64ILi1024E22rocblas_reduce_amax_6424rocblas_index_64_value_tIfElEviPT1_PT2_.uses_vcc, 1
	.set _ZL35rocblas_iamax_iamin_kernel_part2_64ILi1024E22rocblas_reduce_amax_6424rocblas_index_64_value_tIfElEviPT1_PT2_.uses_flat_scratch, 0
	.set _ZL35rocblas_iamax_iamin_kernel_part2_64ILi1024E22rocblas_reduce_amax_6424rocblas_index_64_value_tIfElEviPT1_PT2_.has_dyn_sized_stack, 0
	.set _ZL35rocblas_iamax_iamin_kernel_part2_64ILi1024E22rocblas_reduce_amax_6424rocblas_index_64_value_tIfElEviPT1_PT2_.has_recursion, 0
	.set _ZL35rocblas_iamax_iamin_kernel_part2_64ILi1024E22rocblas_reduce_amax_6424rocblas_index_64_value_tIfElEviPT1_PT2_.has_indirect_call, 0
	.section	.AMDGPU.csdata,"",@progbits
; Kernel info:
; codeLenInByte = 2088
; TotalNumSgprs: 20
; NumVgprs: 16
; ScratchSize: 0
; MemoryBound: 0
; FloatMode: 240
; IeeeMode: 1
; LDSByteSize: 1024 bytes/workgroup (compile time only)
; SGPRBlocks: 2
; VGPRBlocks: 3
; NumSGPRsForWavesPerEU: 20
; NumVGPRsForWavesPerEU: 16
; Occupancy: 10
; WaveLimiterHint : 0
; COMPUTE_PGM_RSRC2:SCRATCH_EN: 0
; COMPUTE_PGM_RSRC2:USER_SGPR: 6
; COMPUTE_PGM_RSRC2:TRAP_HANDLER: 0
; COMPUTE_PGM_RSRC2:TGID_X_EN: 1
; COMPUTE_PGM_RSRC2:TGID_Y_EN: 0
; COMPUTE_PGM_RSRC2:TGID_Z_EN: 0
; COMPUTE_PGM_RSRC2:TIDIG_COMP_CNT: 0
	.section	.text._ZL35rocblas_iamax_iamin_kernel_part1_64ILi1024E26rocblas_fetch_amax_amin_64IdE22rocblas_reduce_amax_64PKd24rocblas_index_64_value_tIdEEvlT2_lllPT3_,"axG",@progbits,_ZL35rocblas_iamax_iamin_kernel_part1_64ILi1024E26rocblas_fetch_amax_amin_64IdE22rocblas_reduce_amax_64PKd24rocblas_index_64_value_tIdEEvlT2_lllPT3_,comdat
	.globl	_ZL35rocblas_iamax_iamin_kernel_part1_64ILi1024E26rocblas_fetch_amax_amin_64IdE22rocblas_reduce_amax_64PKd24rocblas_index_64_value_tIdEEvlT2_lllPT3_ ; -- Begin function _ZL35rocblas_iamax_iamin_kernel_part1_64ILi1024E26rocblas_fetch_amax_amin_64IdE22rocblas_reduce_amax_64PKd24rocblas_index_64_value_tIdEEvlT2_lllPT3_
	.p2align	8
	.type	_ZL35rocblas_iamax_iamin_kernel_part1_64ILi1024E26rocblas_fetch_amax_amin_64IdE22rocblas_reduce_amax_64PKd24rocblas_index_64_value_tIdEEvlT2_lllPT3_,@function
_ZL35rocblas_iamax_iamin_kernel_part1_64ILi1024E26rocblas_fetch_amax_amin_64IdE22rocblas_reduce_amax_64PKd24rocblas_index_64_value_tIdEEvlT2_lllPT3_: ; @_ZL35rocblas_iamax_iamin_kernel_part1_64ILi1024E26rocblas_fetch_amax_amin_64IdE22rocblas_reduce_amax_64PKd24rocblas_index_64_value_tIdEEvlT2_lllPT3_
; %bb.0:
	s_load_dwordx8 s[20:27], s[4:5], 0x0
	s_load_dwordx4 s[16:19], s[4:5], 0x20
	s_mov_b32 s10, s7
	s_waitcnt lgkmcnt(0)
	v_cmp_lt_i64_e64 s[0:1], s[20:21], 1
	s_and_b64 vcc, exec, s[0:1]
	s_cbranch_vccnz .LBB2_53
; %bb.1:
	v_mbcnt_lo_u32_b32 v2, -1, 0
	v_mbcnt_hi_u32_b32 v2, -1, v2
	v_and_b32_e32 v3, 63, v2
	v_mov_b32_e32 v4, 0x80
	v_cmp_gt_u32_e32 vcc, 48, v3
	v_lshl_or_b32 v22, v2, 2, v4
	v_cndmask_b32_e64 v4, 0, 16, vcc
	v_cmp_gt_u32_e32 vcc, 56, v3
	v_add_lshl_u32 v23, v4, v2, 2
	v_cndmask_b32_e64 v4, 0, 8, vcc
	v_cmp_gt_u32_e32 vcc, 60, v3
	v_add_lshl_u32 v24, v4, v2, 2
	v_cndmask_b32_e64 v4, 0, 4, vcc
	v_cmp_gt_u32_e32 vcc, 62, v3
	v_and_b32_e32 v1, 63, v0
	v_add_lshl_u32 v25, v4, v2, 2
	v_cndmask_b32_e64 v4, 0, 2, vcc
	v_cmp_ne_u32_e32 vcc, 63, v3
	v_lshlrev_b32_e32 v21, 4, v1
	v_add_lshl_u32 v26, v4, v2, 2
	v_addc_co_u32_e32 v2, vcc, 0, v2, vcc
	v_cmp_eq_u32_e64 s[2:3], 0, v1
	v_lshrrev_b32_e32 v1, 2, v0
	v_lshl_or_b32 v29, s6, 10, v0
	v_lshlrev_b32_e32 v27, 2, v2
	s_load_dword s7, s[4:5], 0x30
	v_and_b32_e32 v28, 0xf0, v1
	v_mad_u64_u32 v[1:2], s[12:13], s26, v29, 0
	s_mul_i32 s11, s17, s10
	s_mul_hi_u32 s12, s16, s10
	s_add_i32 s13, s12, s11
	v_mad_u64_u32 v[2:3], s[14:15], s27, v29, v[2:3]
	s_mul_i32 s12, s16, s10
	s_waitcnt lgkmcnt(0)
	s_lshl_b32 s7, s7, 10
	s_lshl_b64 s[12:13], s[12:13], 3
	s_lshl_b64 s[14:15], s[24:25], 3
	s_add_u32 s11, s22, s14
	s_addc_u32 s14, s23, s15
	v_lshlrev_b64 v[1:2], 3, v[1:2]
	s_add_u32 s11, s11, s12
	s_addc_u32 s12, s14, s13
	v_mov_b32_e32 v3, s12
	v_add_co_u32_e64 v15, s[12:13], s11, v1
	v_addc_co_u32_e64 v16, s[12:13], v3, v2, s[12:13]
	s_mul_i32 s11, s27, s7
	s_mul_hi_u32 s12, s26, s7
	v_cmp_ne_u32_e32 vcc, 0, v0
	s_add_i32 s13, s12, s11
	s_mul_i32 s12, s26, s7
	v_mov_b32_e32 v1, 0
	v_cmp_gt_u32_e64 s[0:1], 64, v0
	v_cmp_gt_u32_e64 s[8:9], 16, v0
	v_mov_b32_e32 v5, 0
	s_lshl_b64 s[22:23], s[12:13], 3
	s_mov_b64 s[24:25], 0
	v_mov_b32_e32 v2, 0
	s_xor_b64 s[26:27], vcc, -1
                                        ; implicit-def: $vgpr9_vgpr10
	s_branch .LBB2_4
.LBB2_2:                                ;   in Loop: Header=BB2_4 Depth=1
	s_or_b64 exec, exec, s[16:17]
	v_mov_b32_e32 v1, v7
	v_mov_b32_e32 v3, v11
	;; [unrolled: 1-line block ×4, first 2 shown]
.LBB2_3:                                ;   in Loop: Header=BB2_4 Depth=1
	s_or_b64 exec, exec, s[14:15]
	s_add_u32 s24, s24, s7
	v_mov_b32_e32 v6, s20
	s_addc_u32 s25, s25, 0
	v_mov_b32_e32 v7, s21
	v_cmp_ge_i64_e32 vcc, s[24:25], v[6:7]
	v_mov_b32_e32 v8, s23
	v_add_co_u32_e64 v15, s[12:13], s22, v15
	v_addc_co_u32_e64 v16, s[12:13], v16, v8, s[12:13]
	s_cbranch_vccnz .LBB2_54
.LBB2_4:                                ; =>This Inner Loop Header: Depth=1
	v_mov_b32_e32 v7, s25
	v_add_co_u32_e32 v6, vcc, s24, v29
	v_addc_co_u32_e32 v7, vcc, 0, v7, vcc
	v_cmp_gt_i64_e32 vcc, s[20:21], v[6:7]
	v_mov_b32_e32 v11, 0
	v_mov_b32_e32 v12, 0
	s_and_saveexec_b64 s[12:13], vcc
	s_cbranch_execz .LBB2_6
; %bb.5:                                ;   in Loop: Header=BB2_4 Depth=1
	global_load_dwordx2 v[9:10], v[15:16], off
	v_add_co_u32_e32 v11, vcc, 1, v6
	v_addc_co_u32_e32 v12, vcc, 0, v7, vcc
	s_waitcnt vmcnt(0)
	v_cmp_gt_f64_e32 vcc, 0, v[9:10]
	v_xor_b32_e32 v6, 0x80000000, v10
	v_cndmask_b32_e32 v10, v10, v6, vcc
.LBB2_6:                                ;   in Loop: Header=BB2_4 Depth=1
	s_or_b64 exec, exec, s[12:13]
	s_and_saveexec_b64 s[12:13], s[0:1]
; %bb.7:                                ;   in Loop: Header=BB2_4 Depth=1
	v_mov_b32_e32 v6, v5
	v_mov_b32_e32 v7, v5
	v_mov_b32_e32 v8, v5
	ds_write_b128 v21, v[5:8]
; %bb.8:                                ;   in Loop: Header=BB2_4 Depth=1
	s_or_b64 exec, exec, s[12:13]
	ds_bpermute_b32 v6, v22, v11
	ds_bpermute_b32 v7, v22, v12
	;; [unrolled: 1-line block ×4, first 2 shown]
	v_mov_b32_e32 v14, v10
	v_mov_b32_e32 v13, v9
	s_waitcnt lgkmcnt(2)
	v_cmp_ne_u64_e32 vcc, 0, v[6:7]
	s_waitcnt lgkmcnt(0)
	s_barrier
	s_and_saveexec_b64 s[14:15], vcc
	s_cbranch_execz .LBB2_12
; %bb.9:                                ;   in Loop: Header=BB2_4 Depth=1
	v_cmp_nlt_f64_e32 vcc, v[9:10], v[17:18]
	v_cmp_ne_u64_e64 s[12:13], 0, v[11:12]
	v_mov_b32_e32 v13, v17
	v_mov_b32_e32 v14, v18
	s_and_b64 s[12:13], s[12:13], vcc
	s_and_saveexec_b64 s[16:17], s[12:13]
	s_cbranch_execz .LBB2_11
; %bb.10:                               ;   in Loop: Header=BB2_4 Depth=1
	v_cmp_eq_f64_e64 s[12:13], v[9:10], v[17:18]
	v_cmp_lt_i64_e32 vcc, v[6:7], v[11:12]
	v_mov_b32_e32 v14, v10
	v_cndmask_b32_e32 v7, v12, v7, vcc
	v_mov_b32_e32 v13, v9
	v_mov_b32_e32 v17, v9
	;; [unrolled: 1-line block ×3, first 2 shown]
	s_and_b64 vcc, s[12:13], vcc
	v_cndmask_b32_e64 v7, v12, v7, s[12:13]
	v_cndmask_b32_e32 v6, v11, v6, vcc
.LBB2_11:                               ;   in Loop: Header=BB2_4 Depth=1
	s_or_b64 exec, exec, s[16:17]
	v_mov_b32_e32 v12, v7
	v_mov_b32_e32 v10, v18
	;; [unrolled: 1-line block ×4, first 2 shown]
.LBB2_12:                               ;   in Loop: Header=BB2_4 Depth=1
	s_or_b64 exec, exec, s[14:15]
	ds_bpermute_b32 v6, v23, v11
	ds_bpermute_b32 v7, v23, v12
	;; [unrolled: 1-line block ×4, first 2 shown]
	s_waitcnt lgkmcnt(2)
	v_cmp_ne_u64_e32 vcc, 0, v[6:7]
	s_and_saveexec_b64 s[14:15], vcc
	s_cbranch_execz .LBB2_16
; %bb.13:                               ;   in Loop: Header=BB2_4 Depth=1
	s_waitcnt lgkmcnt(0)
	v_cmp_nlt_f64_e32 vcc, v[13:14], v[17:18]
	v_cmp_ne_u64_e64 s[12:13], 0, v[11:12]
	v_mov_b32_e32 v20, v18
	v_mov_b32_e32 v19, v17
	s_and_b64 s[12:13], s[12:13], vcc
	s_and_saveexec_b64 s[16:17], s[12:13]
	s_cbranch_execz .LBB2_15
; %bb.14:                               ;   in Loop: Header=BB2_4 Depth=1
	v_cmp_eq_f64_e64 s[12:13], v[13:14], v[17:18]
	v_cmp_lt_i64_e32 vcc, v[6:7], v[11:12]
	v_mov_b32_e32 v20, v14
	v_cndmask_b32_e32 v7, v12, v7, vcc
	v_mov_b32_e32 v19, v13
	v_mov_b32_e32 v17, v9
	v_mov_b32_e32 v18, v10
	s_and_b64 vcc, s[12:13], vcc
	v_cndmask_b32_e64 v7, v12, v7, s[12:13]
	v_cndmask_b32_e32 v6, v11, v6, vcc
.LBB2_15:                               ;   in Loop: Header=BB2_4 Depth=1
	s_or_b64 exec, exec, s[16:17]
	v_mov_b32_e32 v12, v7
	v_mov_b32_e32 v13, v19
	v_mov_b32_e32 v10, v18
	v_mov_b32_e32 v9, v17
	v_mov_b32_e32 v11, v6
	v_mov_b32_e32 v14, v20
.LBB2_16:                               ;   in Loop: Header=BB2_4 Depth=1
	s_or_b64 exec, exec, s[14:15]
	ds_bpermute_b32 v6, v24, v11
	ds_bpermute_b32 v7, v24, v12
	s_waitcnt lgkmcnt(3)
	ds_bpermute_b32 v17, v24, v9
	s_waitcnt lgkmcnt(3)
	ds_bpermute_b32 v18, v24, v10
	s_waitcnt lgkmcnt(2)
	v_cmp_ne_u64_e32 vcc, 0, v[6:7]
	s_and_saveexec_b64 s[14:15], vcc
	s_cbranch_execz .LBB2_20
; %bb.17:                               ;   in Loop: Header=BB2_4 Depth=1
	s_waitcnt lgkmcnt(0)
	v_cmp_nlt_f64_e32 vcc, v[13:14], v[17:18]
	v_cmp_ne_u64_e64 s[12:13], 0, v[11:12]
	v_mov_b32_e32 v20, v18
	v_mov_b32_e32 v19, v17
	s_and_b64 s[12:13], s[12:13], vcc
	s_and_saveexec_b64 s[16:17], s[12:13]
	s_cbranch_execz .LBB2_19
; %bb.18:                               ;   in Loop: Header=BB2_4 Depth=1
	v_cmp_eq_f64_e64 s[12:13], v[13:14], v[17:18]
	v_cmp_lt_i64_e32 vcc, v[6:7], v[11:12]
	v_mov_b32_e32 v20, v14
	v_cndmask_b32_e32 v7, v12, v7, vcc
	v_mov_b32_e32 v19, v13
	v_mov_b32_e32 v17, v9
	v_mov_b32_e32 v18, v10
	s_and_b64 vcc, s[12:13], vcc
	v_cndmask_b32_e64 v7, v12, v7, s[12:13]
	v_cndmask_b32_e32 v6, v11, v6, vcc
.LBB2_19:                               ;   in Loop: Header=BB2_4 Depth=1
	s_or_b64 exec, exec, s[16:17]
	v_mov_b32_e32 v12, v7
	v_mov_b32_e32 v13, v19
	v_mov_b32_e32 v10, v18
	v_mov_b32_e32 v9, v17
	v_mov_b32_e32 v11, v6
	v_mov_b32_e32 v14, v20
.LBB2_20:                               ;   in Loop: Header=BB2_4 Depth=1
	s_or_b64 exec, exec, s[14:15]
	ds_bpermute_b32 v6, v25, v11
	ds_bpermute_b32 v7, v25, v12
	s_waitcnt lgkmcnt(3)
	ds_bpermute_b32 v17, v25, v9
	s_waitcnt lgkmcnt(3)
	ds_bpermute_b32 v18, v25, v10
	;; [unrolled: 40-line block ×3, first 2 shown]
	s_waitcnt lgkmcnt(2)
	v_cmp_ne_u64_e32 vcc, 0, v[6:7]
	s_and_saveexec_b64 s[14:15], vcc
	s_cbranch_execz .LBB2_28
; %bb.25:                               ;   in Loop: Header=BB2_4 Depth=1
	s_waitcnt lgkmcnt(0)
	v_cmp_nlt_f64_e32 vcc, v[13:14], v[17:18]
	v_cmp_ne_u64_e64 s[12:13], 0, v[11:12]
	v_mov_b32_e32 v20, v18
	v_mov_b32_e32 v19, v17
	s_and_b64 s[12:13], s[12:13], vcc
	s_and_saveexec_b64 s[16:17], s[12:13]
	s_cbranch_execz .LBB2_27
; %bb.26:                               ;   in Loop: Header=BB2_4 Depth=1
	v_cmp_eq_f64_e64 s[12:13], v[13:14], v[17:18]
	v_cmp_lt_i64_e32 vcc, v[6:7], v[11:12]
	v_mov_b32_e32 v20, v14
	v_cndmask_b32_e32 v7, v12, v7, vcc
	v_mov_b32_e32 v19, v13
	v_mov_b32_e32 v17, v9
	;; [unrolled: 1-line block ×3, first 2 shown]
	s_and_b64 vcc, s[12:13], vcc
	v_cndmask_b32_e64 v7, v12, v7, s[12:13]
	v_cndmask_b32_e32 v6, v11, v6, vcc
.LBB2_27:                               ;   in Loop: Header=BB2_4 Depth=1
	s_or_b64 exec, exec, s[16:17]
	v_mov_b32_e32 v12, v7
	v_mov_b32_e32 v13, v19
	;; [unrolled: 1-line block ×6, first 2 shown]
.LBB2_28:                               ;   in Loop: Header=BB2_4 Depth=1
	s_or_b64 exec, exec, s[14:15]
	ds_bpermute_b32 v6, v27, v11
	ds_bpermute_b32 v7, v27, v12
	;; [unrolled: 1-line block ×4, first 2 shown]
	s_waitcnt lgkmcnt(2)
	v_cmp_ne_u64_e32 vcc, 0, v[6:7]
	s_and_saveexec_b64 s[28:29], vcc
	s_cbranch_execz .LBB2_30
; %bb.29:                               ;   in Loop: Header=BB2_4 Depth=1
	s_waitcnt lgkmcnt(0)
	v_mov_b32_e32 v9, v10
	v_cmp_eq_f64_e32 vcc, v[13:14], v[8:9]
	v_cmp_lt_f64_e64 s[12:13], v[13:14], v[8:9]
	v_cmp_lt_i64_e64 s[14:15], v[6:7], v[11:12]
	v_cmp_eq_u64_e64 s[16:17], 0, v[11:12]
	s_and_b64 s[14:15], vcc, s[14:15]
	s_or_b64 vcc, s[16:17], s[12:13]
	s_or_b64 s[12:13], vcc, s[14:15]
	v_cndmask_b32_e32 v14, v14, v10, vcc
	v_cndmask_b32_e64 v12, v12, v7, s[12:13]
	v_cndmask_b32_e64 v11, v11, v6, s[12:13]
	v_cndmask_b32_e32 v13, v13, v8, vcc
.LBB2_30:                               ;   in Loop: Header=BB2_4 Depth=1
	s_or_b64 exec, exec, s[28:29]
	s_and_saveexec_b64 s[12:13], s[2:3]
; %bb.31:                               ;   in Loop: Header=BB2_4 Depth=1
	ds_write_b128 v28, v[11:14]
; %bb.32:                               ;   in Loop: Header=BB2_4 Depth=1
	s_or_b64 exec, exec, s[12:13]
	s_waitcnt lgkmcnt(0)
	v_mov_b32_e32 v9, 0
	v_mov_b32_e32 v7, 0
	;; [unrolled: 1-line block ×4, first 2 shown]
	s_barrier
	s_and_saveexec_b64 s[12:13], s[8:9]
; %bb.33:                               ;   in Loop: Header=BB2_4 Depth=1
	ds_read_b128 v[7:10], v21
; %bb.34:                               ;   in Loop: Header=BB2_4 Depth=1
	s_or_b64 exec, exec, s[12:13]
	s_and_saveexec_b64 s[28:29], s[0:1]
	s_cbranch_execz .LBB2_50
; %bb.35:                               ;   in Loop: Header=BB2_4 Depth=1
	s_waitcnt lgkmcnt(0)
	ds_bpermute_b32 v13, v24, v7
	ds_bpermute_b32 v14, v24, v8
	;; [unrolled: 1-line block ×4, first 2 shown]
	v_mov_b32_e32 v12, v10
	v_mov_b32_e32 v11, v9
	s_waitcnt lgkmcnt(2)
	v_cmp_ne_u64_e32 vcc, 0, v[13:14]
	s_and_saveexec_b64 s[14:15], vcc
	s_cbranch_execz .LBB2_39
; %bb.36:                               ;   in Loop: Header=BB2_4 Depth=1
	s_waitcnt lgkmcnt(0)
	v_cmp_nlt_f64_e32 vcc, v[9:10], v[17:18]
	v_cmp_ne_u64_e64 s[12:13], 0, v[7:8]
	v_mov_b32_e32 v11, v17
	v_mov_b32_e32 v12, v18
	s_and_b64 s[12:13], s[12:13], vcc
	s_and_saveexec_b64 s[16:17], s[12:13]
	s_cbranch_execz .LBB2_38
; %bb.37:                               ;   in Loop: Header=BB2_4 Depth=1
	v_cmp_eq_f64_e64 s[12:13], v[9:10], v[17:18]
	v_cmp_lt_i64_e32 vcc, v[13:14], v[7:8]
	v_mov_b32_e32 v12, v10
	v_cndmask_b32_e32 v6, v8, v14, vcc
	v_mov_b32_e32 v11, v9
	v_mov_b32_e32 v17, v9
	;; [unrolled: 1-line block ×3, first 2 shown]
	s_and_b64 vcc, s[12:13], vcc
	v_cndmask_b32_e64 v14, v8, v6, s[12:13]
	v_cndmask_b32_e32 v13, v7, v13, vcc
.LBB2_38:                               ;   in Loop: Header=BB2_4 Depth=1
	s_or_b64 exec, exec, s[16:17]
	v_mov_b32_e32 v7, v13
	v_mov_b32_e32 v10, v18
	;; [unrolled: 1-line block ×4, first 2 shown]
.LBB2_39:                               ;   in Loop: Header=BB2_4 Depth=1
	s_or_b64 exec, exec, s[14:15]
	ds_bpermute_b32 v13, v25, v7
	ds_bpermute_b32 v14, v25, v8
	s_waitcnt lgkmcnt(3)
	ds_bpermute_b32 v17, v25, v9
	s_waitcnt lgkmcnt(3)
	;; [unrolled: 2-line block ×3, first 2 shown]
	v_cmp_ne_u64_e32 vcc, 0, v[13:14]
	s_and_saveexec_b64 s[14:15], vcc
	s_cbranch_execz .LBB2_43
; %bb.40:                               ;   in Loop: Header=BB2_4 Depth=1
	s_waitcnt lgkmcnt(0)
	v_cmp_nlt_f64_e32 vcc, v[11:12], v[17:18]
	v_cmp_ne_u64_e64 s[12:13], 0, v[7:8]
	v_mov_b32_e32 v20, v18
	v_mov_b32_e32 v19, v17
	s_and_b64 s[12:13], s[12:13], vcc
	s_and_saveexec_b64 s[16:17], s[12:13]
	s_cbranch_execz .LBB2_42
; %bb.41:                               ;   in Loop: Header=BB2_4 Depth=1
	v_cmp_eq_f64_e64 s[12:13], v[11:12], v[17:18]
	v_cmp_lt_i64_e32 vcc, v[13:14], v[7:8]
	v_mov_b32_e32 v20, v12
	v_cndmask_b32_e32 v6, v8, v14, vcc
	v_mov_b32_e32 v19, v11
	v_mov_b32_e32 v17, v9
	;; [unrolled: 1-line block ×3, first 2 shown]
	s_and_b64 vcc, s[12:13], vcc
	v_cndmask_b32_e64 v14, v8, v6, s[12:13]
	v_cndmask_b32_e32 v13, v7, v13, vcc
.LBB2_42:                               ;   in Loop: Header=BB2_4 Depth=1
	s_or_b64 exec, exec, s[16:17]
	v_mov_b32_e32 v7, v13
	v_mov_b32_e32 v11, v19
	;; [unrolled: 1-line block ×6, first 2 shown]
.LBB2_43:                               ;   in Loop: Header=BB2_4 Depth=1
	s_or_b64 exec, exec, s[14:15]
	ds_bpermute_b32 v13, v26, v7
	ds_bpermute_b32 v14, v26, v8
	s_waitcnt lgkmcnt(3)
	ds_bpermute_b32 v17, v26, v9
	s_waitcnt lgkmcnt(3)
	;; [unrolled: 2-line block ×3, first 2 shown]
	v_cmp_ne_u64_e32 vcc, 0, v[13:14]
	s_and_saveexec_b64 s[14:15], vcc
	s_cbranch_execz .LBB2_47
; %bb.44:                               ;   in Loop: Header=BB2_4 Depth=1
	s_waitcnt lgkmcnt(0)
	v_cmp_nlt_f64_e32 vcc, v[11:12], v[17:18]
	v_cmp_ne_u64_e64 s[12:13], 0, v[7:8]
	v_mov_b32_e32 v20, v18
	v_mov_b32_e32 v19, v17
	s_and_b64 s[12:13], s[12:13], vcc
	s_and_saveexec_b64 s[16:17], s[12:13]
	s_cbranch_execz .LBB2_46
; %bb.45:                               ;   in Loop: Header=BB2_4 Depth=1
	v_cmp_eq_f64_e64 s[12:13], v[11:12], v[17:18]
	v_cmp_lt_i64_e32 vcc, v[13:14], v[7:8]
	v_mov_b32_e32 v20, v12
	v_cndmask_b32_e32 v6, v8, v14, vcc
	v_mov_b32_e32 v19, v11
	v_mov_b32_e32 v17, v9
	;; [unrolled: 1-line block ×3, first 2 shown]
	s_and_b64 vcc, s[12:13], vcc
	v_cndmask_b32_e64 v14, v8, v6, s[12:13]
	v_cndmask_b32_e32 v13, v7, v13, vcc
.LBB2_46:                               ;   in Loop: Header=BB2_4 Depth=1
	s_or_b64 exec, exec, s[16:17]
	v_mov_b32_e32 v7, v13
	v_mov_b32_e32 v11, v19
	;; [unrolled: 1-line block ×6, first 2 shown]
.LBB2_47:                               ;   in Loop: Header=BB2_4 Depth=1
	s_or_b64 exec, exec, s[14:15]
	ds_bpermute_b32 v13, v27, v7
	ds_bpermute_b32 v14, v27, v8
	;; [unrolled: 1-line block ×4, first 2 shown]
	s_waitcnt lgkmcnt(2)
	v_cmp_ne_u64_e32 vcc, 0, v[13:14]
	s_and_saveexec_b64 s[30:31], vcc
	s_cbranch_execz .LBB2_49
; %bb.48:                               ;   in Loop: Header=BB2_4 Depth=1
	s_waitcnt lgkmcnt(0)
	v_mov_b32_e32 v10, v6
	v_cmp_eq_f64_e32 vcc, v[11:12], v[9:10]
	v_cmp_lt_f64_e64 s[12:13], v[11:12], v[9:10]
	v_cmp_lt_i64_e64 s[14:15], v[13:14], v[7:8]
	v_cmp_eq_u64_e64 s[16:17], 0, v[7:8]
	s_and_b64 s[14:15], vcc, s[14:15]
	s_or_b64 vcc, s[16:17], s[12:13]
	s_or_b64 s[12:13], vcc, s[14:15]
	v_cndmask_b32_e32 v12, v12, v6, vcc
	v_cndmask_b32_e64 v8, v8, v14, s[12:13]
	v_cndmask_b32_e64 v7, v7, v13, s[12:13]
	v_cndmask_b32_e32 v11, v11, v9, vcc
.LBB2_49:                               ;   in Loop: Header=BB2_4 Depth=1
	s_or_b64 exec, exec, s[30:31]
	s_waitcnt lgkmcnt(1)
	v_mov_b32_e32 v9, v11
	v_mov_b32_e32 v10, v12
.LBB2_50:                               ;   in Loop: Header=BB2_4 Depth=1
	s_or_b64 exec, exec, s[28:29]
	s_waitcnt lgkmcnt(0)
	v_cmp_ne_u64_e32 vcc, 0, v[7:8]
	s_and_b64 s[12:13], s[26:27], vcc
	s_and_saveexec_b64 s[14:15], s[12:13]
	s_cbranch_execz .LBB2_3
; %bb.51:                               ;   in Loop: Header=BB2_4 Depth=1
	v_cmp_ngt_f64_e32 vcc, v[9:10], v[3:4]
	v_cmp_ne_u64_e64 s[12:13], 0, v[1:2]
	v_mov_b32_e32 v12, v10
	v_mov_b32_e32 v11, v9
	s_and_b64 s[12:13], s[12:13], vcc
	s_and_saveexec_b64 s[16:17], s[12:13]
	s_cbranch_execz .LBB2_2
; %bb.52:                               ;   in Loop: Header=BB2_4 Depth=1
	v_cmp_eq_f64_e64 s[12:13], v[3:4], v[9:10]
	v_cmp_lt_i64_e32 vcc, v[7:8], v[1:2]
	v_mov_b32_e32 v12, v4
	v_cndmask_b32_e32 v6, v2, v8, vcc
	v_mov_b32_e32 v11, v3
	s_and_b64 vcc, s[12:13], vcc
	v_cndmask_b32_e64 v8, v2, v6, s[12:13]
	v_cndmask_b32_e32 v7, v1, v7, vcc
	s_branch .LBB2_2
.LBB2_53:
	v_mov_b32_e32 v1, 0
	v_mov_b32_e32 v2, 0
.LBB2_54:
	s_mov_b32 s7, 0
	v_cmp_eq_u32_e32 vcc, 0, v0
	s_and_saveexec_b64 s[0:1], vcc
	s_cbranch_execz .LBB2_56
; %bb.55:
	s_load_dword s0, s[4:5], 0x30
	v_mov_b32_e32 v0, 0
	s_waitcnt lgkmcnt(0)
	s_mul_hi_u32 s1, s0, s10
	s_mul_i32 s0, s0, s10
	s_lshl_b64 s[0:1], s[0:1], 4
	s_add_u32 s2, s18, s0
	s_addc_u32 s3, s19, s1
	s_lshl_b64 s[0:1], s[6:7], 4
	s_add_u32 s0, s2, s0
	s_addc_u32 s1, s3, s1
	global_store_dwordx4 v0, v[1:4], s[0:1]
.LBB2_56:
	s_endpgm
	.section	.rodata,"a",@progbits
	.p2align	6, 0x0
	.amdhsa_kernel _ZL35rocblas_iamax_iamin_kernel_part1_64ILi1024E26rocblas_fetch_amax_amin_64IdE22rocblas_reduce_amax_64PKd24rocblas_index_64_value_tIdEEvlT2_lllPT3_
		.amdhsa_group_segment_fixed_size 1024
		.amdhsa_private_segment_fixed_size 0
		.amdhsa_kernarg_size 304
		.amdhsa_user_sgpr_count 6
		.amdhsa_user_sgpr_private_segment_buffer 1
		.amdhsa_user_sgpr_dispatch_ptr 0
		.amdhsa_user_sgpr_queue_ptr 0
		.amdhsa_user_sgpr_kernarg_segment_ptr 1
		.amdhsa_user_sgpr_dispatch_id 0
		.amdhsa_user_sgpr_flat_scratch_init 0
		.amdhsa_user_sgpr_private_segment_size 0
		.amdhsa_uses_dynamic_stack 0
		.amdhsa_system_sgpr_private_segment_wavefront_offset 0
		.amdhsa_system_sgpr_workgroup_id_x 1
		.amdhsa_system_sgpr_workgroup_id_y 0
		.amdhsa_system_sgpr_workgroup_id_z 1
		.amdhsa_system_sgpr_workgroup_info 0
		.amdhsa_system_vgpr_workitem_id 0
		.amdhsa_next_free_vgpr 30
		.amdhsa_next_free_sgpr 32
		.amdhsa_reserve_vcc 1
		.amdhsa_reserve_flat_scratch 0
		.amdhsa_float_round_mode_32 0
		.amdhsa_float_round_mode_16_64 0
		.amdhsa_float_denorm_mode_32 3
		.amdhsa_float_denorm_mode_16_64 3
		.amdhsa_dx10_clamp 1
		.amdhsa_ieee_mode 1
		.amdhsa_fp16_overflow 0
		.amdhsa_exception_fp_ieee_invalid_op 0
		.amdhsa_exception_fp_denorm_src 0
		.amdhsa_exception_fp_ieee_div_zero 0
		.amdhsa_exception_fp_ieee_overflow 0
		.amdhsa_exception_fp_ieee_underflow 0
		.amdhsa_exception_fp_ieee_inexact 0
		.amdhsa_exception_int_div_zero 0
	.end_amdhsa_kernel
	.section	.text._ZL35rocblas_iamax_iamin_kernel_part1_64ILi1024E26rocblas_fetch_amax_amin_64IdE22rocblas_reduce_amax_64PKd24rocblas_index_64_value_tIdEEvlT2_lllPT3_,"axG",@progbits,_ZL35rocblas_iamax_iamin_kernel_part1_64ILi1024E26rocblas_fetch_amax_amin_64IdE22rocblas_reduce_amax_64PKd24rocblas_index_64_value_tIdEEvlT2_lllPT3_,comdat
.Lfunc_end2:
	.size	_ZL35rocblas_iamax_iamin_kernel_part1_64ILi1024E26rocblas_fetch_amax_amin_64IdE22rocblas_reduce_amax_64PKd24rocblas_index_64_value_tIdEEvlT2_lllPT3_, .Lfunc_end2-_ZL35rocblas_iamax_iamin_kernel_part1_64ILi1024E26rocblas_fetch_amax_amin_64IdE22rocblas_reduce_amax_64PKd24rocblas_index_64_value_tIdEEvlT2_lllPT3_
                                        ; -- End function
	.set _ZL35rocblas_iamax_iamin_kernel_part1_64ILi1024E26rocblas_fetch_amax_amin_64IdE22rocblas_reduce_amax_64PKd24rocblas_index_64_value_tIdEEvlT2_lllPT3_.num_vgpr, 30
	.set _ZL35rocblas_iamax_iamin_kernel_part1_64ILi1024E26rocblas_fetch_amax_amin_64IdE22rocblas_reduce_amax_64PKd24rocblas_index_64_value_tIdEEvlT2_lllPT3_.num_agpr, 0
	.set _ZL35rocblas_iamax_iamin_kernel_part1_64ILi1024E26rocblas_fetch_amax_amin_64IdE22rocblas_reduce_amax_64PKd24rocblas_index_64_value_tIdEEvlT2_lllPT3_.numbered_sgpr, 32
	.set _ZL35rocblas_iamax_iamin_kernel_part1_64ILi1024E26rocblas_fetch_amax_amin_64IdE22rocblas_reduce_amax_64PKd24rocblas_index_64_value_tIdEEvlT2_lllPT3_.num_named_barrier, 0
	.set _ZL35rocblas_iamax_iamin_kernel_part1_64ILi1024E26rocblas_fetch_amax_amin_64IdE22rocblas_reduce_amax_64PKd24rocblas_index_64_value_tIdEEvlT2_lllPT3_.private_seg_size, 0
	.set _ZL35rocblas_iamax_iamin_kernel_part1_64ILi1024E26rocblas_fetch_amax_amin_64IdE22rocblas_reduce_amax_64PKd24rocblas_index_64_value_tIdEEvlT2_lllPT3_.uses_vcc, 1
	.set _ZL35rocblas_iamax_iamin_kernel_part1_64ILi1024E26rocblas_fetch_amax_amin_64IdE22rocblas_reduce_amax_64PKd24rocblas_index_64_value_tIdEEvlT2_lllPT3_.uses_flat_scratch, 0
	.set _ZL35rocblas_iamax_iamin_kernel_part1_64ILi1024E26rocblas_fetch_amax_amin_64IdE22rocblas_reduce_amax_64PKd24rocblas_index_64_value_tIdEEvlT2_lllPT3_.has_dyn_sized_stack, 0
	.set _ZL35rocblas_iamax_iamin_kernel_part1_64ILi1024E26rocblas_fetch_amax_amin_64IdE22rocblas_reduce_amax_64PKd24rocblas_index_64_value_tIdEEvlT2_lllPT3_.has_recursion, 0
	.set _ZL35rocblas_iamax_iamin_kernel_part1_64ILi1024E26rocblas_fetch_amax_amin_64IdE22rocblas_reduce_amax_64PKd24rocblas_index_64_value_tIdEEvlT2_lllPT3_.has_indirect_call, 0
	.section	.AMDGPU.csdata,"",@progbits
; Kernel info:
; codeLenInByte = 2404
; TotalNumSgprs: 36
; NumVgprs: 30
; ScratchSize: 0
; MemoryBound: 0
; FloatMode: 240
; IeeeMode: 1
; LDSByteSize: 1024 bytes/workgroup (compile time only)
; SGPRBlocks: 4
; VGPRBlocks: 7
; NumSGPRsForWavesPerEU: 36
; NumVGPRsForWavesPerEU: 30
; Occupancy: 8
; WaveLimiterHint : 0
; COMPUTE_PGM_RSRC2:SCRATCH_EN: 0
; COMPUTE_PGM_RSRC2:USER_SGPR: 6
; COMPUTE_PGM_RSRC2:TRAP_HANDLER: 0
; COMPUTE_PGM_RSRC2:TGID_X_EN: 1
; COMPUTE_PGM_RSRC2:TGID_Y_EN: 0
; COMPUTE_PGM_RSRC2:TGID_Z_EN: 1
; COMPUTE_PGM_RSRC2:TIDIG_COMP_CNT: 0
	.section	.text._ZL35rocblas_iamax_iamin_kernel_part2_64ILi1024E22rocblas_reduce_amax_6424rocblas_index_64_value_tIdElEviPT1_PT2_,"axG",@progbits,_ZL35rocblas_iamax_iamin_kernel_part2_64ILi1024E22rocblas_reduce_amax_6424rocblas_index_64_value_tIdElEviPT1_PT2_,comdat
	.globl	_ZL35rocblas_iamax_iamin_kernel_part2_64ILi1024E22rocblas_reduce_amax_6424rocblas_index_64_value_tIdElEviPT1_PT2_ ; -- Begin function _ZL35rocblas_iamax_iamin_kernel_part2_64ILi1024E22rocblas_reduce_amax_6424rocblas_index_64_value_tIdElEviPT1_PT2_
	.p2align	8
	.type	_ZL35rocblas_iamax_iamin_kernel_part2_64ILi1024E22rocblas_reduce_amax_6424rocblas_index_64_value_tIdElEviPT1_PT2_,@function
_ZL35rocblas_iamax_iamin_kernel_part2_64ILi1024E22rocblas_reduce_amax_6424rocblas_index_64_value_tIdElEviPT1_PT2_: ; @_ZL35rocblas_iamax_iamin_kernel_part2_64ILi1024E22rocblas_reduce_amax_6424rocblas_index_64_value_tIdElEviPT1_PT2_
; %bb.0:
	s_load_dword s7, s[4:5], 0x0
	s_load_dwordx4 s[8:11], s[4:5], 0x8
	v_mov_b32_e32 v1, 0
	v_mov_b32_e32 v2, 0
	s_waitcnt lgkmcnt(0)
	v_cmp_gt_i32_e32 vcc, s7, v0
	s_and_saveexec_b64 s[2:3], vcc
	s_cbranch_execz .LBB3_10
; %bb.1:
	s_mul_hi_u32 s1, s7, s6
	s_mul_i32 s0, s7, s6
	s_lshl_b64 s[0:1], s[0:1], 4
	s_add_u32 s4, s8, s0
	s_addc_u32 s5, s9, s1
	v_lshlrev_b32_e32 v5, 4, v0
	global_load_dwordx4 v[1:4], v5, s[4:5]
	v_or_b32_e32 v11, 0x400, v0
	v_cmp_gt_u32_e32 vcc, s7, v11
	s_and_saveexec_b64 s[4:5], vcc
	s_cbranch_execz .LBB3_9
; %bb.2:
	s_add_u32 s0, s8, s0
	s_addc_u32 s1, s9, s1
	v_mov_b32_e32 v6, s1
	v_add_co_u32_e32 v5, vcc, s0, v5
	v_addc_co_u32_e32 v6, vcc, 0, v6, vcc
	v_add_co_u32_e32 v5, vcc, 0x4008, v5
	v_addc_co_u32_e32 v6, vcc, 0, v6, vcc
	s_mov_b64 s[8:9], 0
	s_branch .LBB3_5
.LBB3_3:                                ;   in Loop: Header=BB3_5 Depth=1
	s_or_b64 exec, exec, s[14:15]
	v_mov_b32_e32 v1, v7
	v_mov_b32_e32 v3, v9
	;; [unrolled: 1-line block ×4, first 2 shown]
.LBB3_4:                                ;   in Loop: Header=BB3_5 Depth=1
	s_or_b64 exec, exec, s[12:13]
	v_add_u32_e32 v11, 0x400, v11
	v_add_co_u32_e32 v5, vcc, 0x4000, v5
	v_cmp_le_i32_e64 s[0:1], s7, v11
	s_or_b64 s[8:9], s[0:1], s[8:9]
	v_addc_co_u32_e32 v6, vcc, 0, v6, vcc
	s_andn2_b64 exec, exec, s[8:9]
	s_cbranch_execz .LBB3_8
.LBB3_5:                                ; =>This Inner Loop Header: Depth=1
	global_load_dwordx2 v[7:8], v[5:6], off offset:-8
	s_waitcnt vmcnt(0)
	v_cmp_ne_u64_e32 vcc, 0, v[7:8]
	s_and_saveexec_b64 s[12:13], vcc
	s_cbranch_execz .LBB3_4
; %bb.6:                                ;   in Loop: Header=BB3_5 Depth=1
	global_load_dwordx2 v[9:10], v[5:6], off
	v_cmp_ne_u64_e64 s[0:1], 0, v[1:2]
	s_waitcnt vmcnt(0)
	v_cmp_ngt_f64_e32 vcc, v[9:10], v[3:4]
	s_and_b64 s[0:1], s[0:1], vcc
	s_and_saveexec_b64 s[14:15], s[0:1]
	s_cbranch_execz .LBB3_3
; %bb.7:                                ;   in Loop: Header=BB3_5 Depth=1
	v_cmp_eq_f64_e64 s[0:1], v[3:4], v[9:10]
	v_cmp_lt_i64_e32 vcc, v[7:8], v[1:2]
	v_mov_b32_e32 v10, v4
	v_cndmask_b32_e32 v8, v2, v8, vcc
	v_mov_b32_e32 v9, v3
	s_and_b64 vcc, s[0:1], vcc
	v_cndmask_b32_e64 v8, v2, v8, s[0:1]
	v_cndmask_b32_e32 v7, v1, v7, vcc
	s_branch .LBB3_3
.LBB3_8:
	s_or_b64 exec, exec, s[8:9]
.LBB3_9:
	s_or_b64 exec, exec, s[4:5]
.LBB3_10:
	s_or_b64 exec, exec, s[2:3]
	v_and_b32_e32 v14, 63, v0
	v_cmp_gt_u32_e32 vcc, 64, v0
	v_lshlrev_b32_e32 v13, 4, v14
	s_and_saveexec_b64 s[0:1], vcc
; %bb.11:
	v_mov_b32_e32 v5, 0
	v_mov_b32_e32 v6, v5
	;; [unrolled: 1-line block ×4, first 2 shown]
	ds_write_b128 v13, v[5:8]
; %bb.12:
	s_or_b64 exec, exec, s[0:1]
	v_mbcnt_lo_u32_b32 v5, -1, 0
	v_mbcnt_hi_u32_b32 v15, -1, v5
	v_mov_b32_e32 v5, 0x80
	v_lshl_or_b32 v5, v15, 2, v5
	s_waitcnt vmcnt(0)
	ds_bpermute_b32 v7, v5, v1
	ds_bpermute_b32 v8, v5, v2
	;; [unrolled: 1-line block ×4, first 2 shown]
	v_mov_b32_e32 v6, v4
	v_mov_b32_e32 v5, v3
	s_waitcnt lgkmcnt(2)
	v_cmp_ne_u64_e64 s[0:1], 0, v[7:8]
	s_waitcnt lgkmcnt(0)
	s_barrier
	s_and_saveexec_b64 s[4:5], s[0:1]
	s_cbranch_execz .LBB3_16
; %bb.13:
	v_cmp_nlt_f64_e64 s[0:1], v[3:4], v[9:10]
	v_cmp_ne_u64_e64 s[2:3], 0, v[1:2]
	v_mov_b32_e32 v5, v9
	v_mov_b32_e32 v6, v10
	s_and_b64 s[0:1], s[2:3], s[0:1]
	s_and_saveexec_b64 s[8:9], s[0:1]
	s_cbranch_execz .LBB3_15
; %bb.14:
	v_cmp_eq_f64_e64 s[2:3], v[3:4], v[9:10]
	v_cmp_lt_i64_e64 s[0:1], v[7:8], v[1:2]
	v_mov_b32_e32 v6, v4
	v_cndmask_b32_e64 v8, v2, v8, s[0:1]
	v_mov_b32_e32 v5, v3
	v_mov_b32_e32 v9, v3
	;; [unrolled: 1-line block ×3, first 2 shown]
	s_and_b64 s[0:1], s[2:3], s[0:1]
	v_cndmask_b32_e64 v8, v2, v8, s[2:3]
	v_cndmask_b32_e64 v7, v1, v7, s[0:1]
.LBB3_15:
	s_or_b64 exec, exec, s[8:9]
	v_mov_b32_e32 v1, v7
	v_mov_b32_e32 v4, v10
	;; [unrolled: 1-line block ×4, first 2 shown]
.LBB3_16:
	s_or_b64 exec, exec, s[4:5]
	v_and_b32_e32 v19, 63, v15
	v_cmp_gt_u32_e64 s[0:1], 48, v19
	v_cndmask_b32_e64 v7, 0, 16, s[0:1]
	v_add_lshl_u32 v10, v7, v15, 2
	ds_bpermute_b32 v7, v10, v1
	ds_bpermute_b32 v8, v10, v2
	ds_bpermute_b32 v9, v10, v3
	ds_bpermute_b32 v10, v10, v4
	s_waitcnt lgkmcnt(2)
	v_cmp_ne_u64_e64 s[0:1], 0, v[7:8]
	s_and_saveexec_b64 s[4:5], s[0:1]
	s_cbranch_execz .LBB3_20
; %bb.17:
	s_waitcnt lgkmcnt(0)
	v_cmp_nlt_f64_e64 s[0:1], v[5:6], v[9:10]
	v_cmp_ne_u64_e64 s[2:3], 0, v[1:2]
	v_mov_b32_e32 v12, v10
	v_mov_b32_e32 v11, v9
	s_and_b64 s[0:1], s[2:3], s[0:1]
	s_and_saveexec_b64 s[8:9], s[0:1]
	s_cbranch_execz .LBB3_19
; %bb.18:
	v_cmp_eq_f64_e64 s[2:3], v[5:6], v[9:10]
	v_cmp_lt_i64_e64 s[0:1], v[7:8], v[1:2]
	v_mov_b32_e32 v12, v6
	v_cndmask_b32_e64 v8, v2, v8, s[0:1]
	v_mov_b32_e32 v11, v5
	v_mov_b32_e32 v9, v3
	v_mov_b32_e32 v10, v4
	s_and_b64 s[0:1], s[2:3], s[0:1]
	v_cndmask_b32_e64 v8, v2, v8, s[2:3]
	v_cndmask_b32_e64 v7, v1, v7, s[0:1]
.LBB3_19:
	s_or_b64 exec, exec, s[8:9]
	v_mov_b32_e32 v1, v7
	v_mov_b32_e32 v5, v11
	v_mov_b32_e32 v4, v10
	v_mov_b32_e32 v3, v9
	v_mov_b32_e32 v2, v8
	v_mov_b32_e32 v6, v12
.LBB3_20:
	s_or_b64 exec, exec, s[4:5]
	v_cmp_gt_u32_e64 s[0:1], 56, v19
	v_cndmask_b32_e64 v7, 0, 8, s[0:1]
	v_add_lshl_u32 v16, v7, v15, 2
	ds_bpermute_b32 v7, v16, v1
	ds_bpermute_b32 v8, v16, v2
	s_waitcnt lgkmcnt(3)
	ds_bpermute_b32 v9, v16, v3
	s_waitcnt lgkmcnt(3)
	ds_bpermute_b32 v10, v16, v4
	s_waitcnt lgkmcnt(2)
	v_cmp_ne_u64_e64 s[0:1], 0, v[7:8]
	s_and_saveexec_b64 s[4:5], s[0:1]
	s_cbranch_execz .LBB3_24
; %bb.21:
	s_waitcnt lgkmcnt(0)
	v_cmp_nlt_f64_e64 s[0:1], v[5:6], v[9:10]
	v_cmp_ne_u64_e64 s[2:3], 0, v[1:2]
	v_mov_b32_e32 v12, v10
	v_mov_b32_e32 v11, v9
	s_and_b64 s[0:1], s[2:3], s[0:1]
	s_and_saveexec_b64 s[8:9], s[0:1]
	s_cbranch_execz .LBB3_23
; %bb.22:
	v_cmp_eq_f64_e64 s[2:3], v[5:6], v[9:10]
	v_cmp_lt_i64_e64 s[0:1], v[7:8], v[1:2]
	v_mov_b32_e32 v12, v6
	v_cndmask_b32_e64 v8, v2, v8, s[0:1]
	v_mov_b32_e32 v11, v5
	v_mov_b32_e32 v9, v3
	v_mov_b32_e32 v10, v4
	s_and_b64 s[0:1], s[2:3], s[0:1]
	v_cndmask_b32_e64 v8, v2, v8, s[2:3]
	v_cndmask_b32_e64 v7, v1, v7, s[0:1]
.LBB3_23:
	s_or_b64 exec, exec, s[8:9]
	v_mov_b32_e32 v1, v7
	v_mov_b32_e32 v5, v11
	v_mov_b32_e32 v4, v10
	v_mov_b32_e32 v3, v9
	v_mov_b32_e32 v2, v8
	v_mov_b32_e32 v6, v12
.LBB3_24:
	s_or_b64 exec, exec, s[4:5]
	v_cmp_gt_u32_e64 s[0:1], 60, v19
	v_cndmask_b32_e64 v7, 0, 4, s[0:1]
	v_add_lshl_u32 v17, v7, v15, 2
	ds_bpermute_b32 v7, v17, v1
	ds_bpermute_b32 v8, v17, v2
	s_waitcnt lgkmcnt(3)
	ds_bpermute_b32 v9, v17, v3
	s_waitcnt lgkmcnt(3)
	ds_bpermute_b32 v10, v17, v4
	;; [unrolled: 43-line block ×3, first 2 shown]
	s_waitcnt lgkmcnt(2)
	v_cmp_ne_u64_e64 s[0:1], 0, v[7:8]
	s_and_saveexec_b64 s[4:5], s[0:1]
	s_cbranch_execz .LBB3_32
; %bb.29:
	s_waitcnt lgkmcnt(0)
	v_cmp_nlt_f64_e64 s[0:1], v[5:6], v[9:10]
	v_cmp_ne_u64_e64 s[2:3], 0, v[1:2]
	v_mov_b32_e32 v12, v10
	v_mov_b32_e32 v11, v9
	s_and_b64 s[0:1], s[2:3], s[0:1]
	s_and_saveexec_b64 s[8:9], s[0:1]
	s_cbranch_execz .LBB3_31
; %bb.30:
	v_cmp_eq_f64_e64 s[2:3], v[5:6], v[9:10]
	v_cmp_lt_i64_e64 s[0:1], v[7:8], v[1:2]
	v_mov_b32_e32 v12, v6
	v_cndmask_b32_e64 v8, v2, v8, s[0:1]
	v_mov_b32_e32 v11, v5
	v_mov_b32_e32 v9, v3
	;; [unrolled: 1-line block ×3, first 2 shown]
	s_and_b64 s[0:1], s[2:3], s[0:1]
	v_cndmask_b32_e64 v8, v2, v8, s[2:3]
	v_cndmask_b32_e64 v7, v1, v7, s[0:1]
.LBB3_31:
	s_or_b64 exec, exec, s[8:9]
	v_mov_b32_e32 v1, v7
	v_mov_b32_e32 v5, v11
	;; [unrolled: 1-line block ×6, first 2 shown]
.LBB3_32:
	s_or_b64 exec, exec, s[4:5]
	v_cmp_ne_u32_e64 s[0:1], 63, v19
	v_addc_co_u32_e64 v7, s[0:1], 0, v15, s[0:1]
	v_lshlrev_b32_e32 v15, 2, v7
	ds_bpermute_b32 v7, v15, v1
	ds_bpermute_b32 v8, v15, v2
	;; [unrolled: 1-line block ×3, first 2 shown]
	s_waitcnt lgkmcnt(4)
	ds_bpermute_b32 v9, v15, v4
	s_waitcnt lgkmcnt(2)
	v_cmp_ne_u64_e64 s[0:1], 0, v[7:8]
	s_and_saveexec_b64 s[12:13], s[0:1]
	s_cbranch_execz .LBB3_34
; %bb.33:
	s_waitcnt lgkmcnt(0)
	v_mov_b32_e32 v4, v9
	v_cmp_eq_f64_e64 s[0:1], v[5:6], v[3:4]
	v_cmp_lt_f64_e64 s[2:3], v[5:6], v[3:4]
	v_cmp_lt_i64_e64 s[4:5], v[7:8], v[1:2]
	v_cmp_eq_u64_e64 s[8:9], 0, v[1:2]
	s_and_b64 s[4:5], s[0:1], s[4:5]
	s_or_b64 s[0:1], s[8:9], s[2:3]
	s_or_b64 s[2:3], s[0:1], s[4:5]
	v_cndmask_b32_e64 v6, v6, v9, s[0:1]
	v_cndmask_b32_e64 v2, v2, v8, s[2:3]
	;; [unrolled: 1-line block ×4, first 2 shown]
.LBB3_34:
	s_or_b64 exec, exec, s[12:13]
	v_cmp_eq_u32_e64 s[0:1], 0, v14
	s_and_saveexec_b64 s[2:3], s[0:1]
	s_cbranch_execz .LBB3_36
; %bb.35:
	s_waitcnt lgkmcnt(1)
	v_lshrrev_b32_e32 v3, 2, v0
	v_and_b32_e32 v7, 0xf0, v3
	v_mov_b32_e32 v3, v5
	v_mov_b32_e32 v4, v6
	ds_write_b128 v7, v[1:4]
.LBB3_36:
	s_or_b64 exec, exec, s[2:3]
	s_waitcnt lgkmcnt(1)
	v_mov_b32_e32 v3, 0
	v_mov_b32_e32 v1, 0
	;; [unrolled: 1-line block ×4, first 2 shown]
	v_cmp_gt_u32_e64 s[0:1], 16, v0
	s_waitcnt lgkmcnt(0)
	s_barrier
	s_and_saveexec_b64 s[2:3], s[0:1]
; %bb.37:
	ds_read_b128 v[1:4], v13
; %bb.38:
	s_or_b64 exec, exec, s[2:3]
	s_and_saveexec_b64 s[8:9], vcc
	s_cbranch_execz .LBB3_54
; %bb.39:
	s_waitcnt lgkmcnt(0)
	ds_bpermute_b32 v7, v16, v1
	ds_bpermute_b32 v8, v16, v2
	;; [unrolled: 1-line block ×4, first 2 shown]
	v_mov_b32_e32 v6, v4
	v_mov_b32_e32 v5, v3
	s_waitcnt lgkmcnt(2)
	v_cmp_ne_u64_e32 vcc, 0, v[7:8]
	s_and_saveexec_b64 s[2:3], vcc
	s_cbranch_execz .LBB3_43
; %bb.40:
	s_waitcnt lgkmcnt(0)
	v_cmp_nlt_f64_e32 vcc, v[3:4], v[9:10]
	v_cmp_ne_u64_e64 s[0:1], 0, v[1:2]
	v_mov_b32_e32 v5, v9
	v_mov_b32_e32 v6, v10
	s_and_b64 s[0:1], s[0:1], vcc
	s_and_saveexec_b64 s[4:5], s[0:1]
	s_cbranch_execz .LBB3_42
; %bb.41:
	v_cmp_eq_f64_e64 s[0:1], v[3:4], v[9:10]
	v_cmp_lt_i64_e32 vcc, v[7:8], v[1:2]
	v_mov_b32_e32 v6, v4
	v_cndmask_b32_e32 v8, v2, v8, vcc
	v_mov_b32_e32 v5, v3
	v_mov_b32_e32 v9, v3
	;; [unrolled: 1-line block ×3, first 2 shown]
	s_and_b64 vcc, s[0:1], vcc
	v_cndmask_b32_e64 v8, v2, v8, s[0:1]
	v_cndmask_b32_e32 v7, v1, v7, vcc
.LBB3_42:
	s_or_b64 exec, exec, s[4:5]
	v_mov_b32_e32 v1, v7
	v_mov_b32_e32 v4, v10
	;; [unrolled: 1-line block ×4, first 2 shown]
.LBB3_43:
	s_or_b64 exec, exec, s[2:3]
	ds_bpermute_b32 v7, v17, v1
	ds_bpermute_b32 v8, v17, v2
	s_waitcnt lgkmcnt(3)
	ds_bpermute_b32 v9, v17, v3
	s_waitcnt lgkmcnt(3)
	;; [unrolled: 2-line block ×3, first 2 shown]
	v_cmp_ne_u64_e32 vcc, 0, v[7:8]
	s_and_saveexec_b64 s[2:3], vcc
	s_cbranch_execz .LBB3_47
; %bb.44:
	s_waitcnt lgkmcnt(0)
	v_cmp_nlt_f64_e32 vcc, v[5:6], v[9:10]
	v_cmp_ne_u64_e64 s[0:1], 0, v[1:2]
	v_mov_b32_e32 v12, v10
	v_mov_b32_e32 v11, v9
	s_and_b64 s[0:1], s[0:1], vcc
	s_and_saveexec_b64 s[4:5], s[0:1]
	s_cbranch_execz .LBB3_46
; %bb.45:
	v_cmp_eq_f64_e64 s[0:1], v[5:6], v[9:10]
	v_cmp_lt_i64_e32 vcc, v[7:8], v[1:2]
	v_mov_b32_e32 v12, v6
	v_cndmask_b32_e32 v8, v2, v8, vcc
	v_mov_b32_e32 v11, v5
	v_mov_b32_e32 v9, v3
	;; [unrolled: 1-line block ×3, first 2 shown]
	s_and_b64 vcc, s[0:1], vcc
	v_cndmask_b32_e64 v8, v2, v8, s[0:1]
	v_cndmask_b32_e32 v7, v1, v7, vcc
.LBB3_46:
	s_or_b64 exec, exec, s[4:5]
	v_mov_b32_e32 v1, v7
	v_mov_b32_e32 v5, v11
	;; [unrolled: 1-line block ×6, first 2 shown]
.LBB3_47:
	s_or_b64 exec, exec, s[2:3]
	ds_bpermute_b32 v7, v18, v1
	ds_bpermute_b32 v8, v18, v2
	s_waitcnt lgkmcnt(3)
	ds_bpermute_b32 v9, v18, v3
	s_waitcnt lgkmcnt(3)
	;; [unrolled: 2-line block ×3, first 2 shown]
	v_cmp_ne_u64_e32 vcc, 0, v[7:8]
	s_and_saveexec_b64 s[2:3], vcc
	s_cbranch_execz .LBB3_51
; %bb.48:
	s_waitcnt lgkmcnt(0)
	v_cmp_nlt_f64_e32 vcc, v[5:6], v[9:10]
	v_cmp_ne_u64_e64 s[0:1], 0, v[1:2]
	v_mov_b32_e32 v12, v10
	v_mov_b32_e32 v11, v9
	s_and_b64 s[0:1], s[0:1], vcc
	s_and_saveexec_b64 s[4:5], s[0:1]
	s_cbranch_execz .LBB3_50
; %bb.49:
	v_cmp_eq_f64_e64 s[0:1], v[5:6], v[9:10]
	v_cmp_lt_i64_e32 vcc, v[7:8], v[1:2]
	v_mov_b32_e32 v12, v6
	v_cndmask_b32_e32 v8, v2, v8, vcc
	v_mov_b32_e32 v11, v5
	v_mov_b32_e32 v9, v3
	;; [unrolled: 1-line block ×3, first 2 shown]
	s_and_b64 vcc, s[0:1], vcc
	v_cndmask_b32_e64 v8, v2, v8, s[0:1]
	v_cndmask_b32_e32 v7, v1, v7, vcc
.LBB3_50:
	s_or_b64 exec, exec, s[4:5]
	v_mov_b32_e32 v1, v7
	v_mov_b32_e32 v5, v11
	;; [unrolled: 1-line block ×6, first 2 shown]
.LBB3_51:
	s_or_b64 exec, exec, s[2:3]
	ds_bpermute_b32 v7, v15, v1
	ds_bpermute_b32 v8, v15, v2
	;; [unrolled: 1-line block ×4, first 2 shown]
	s_waitcnt lgkmcnt(2)
	v_cmp_ne_u64_e32 vcc, 0, v[7:8]
	s_and_saveexec_b64 s[12:13], vcc
	s_cbranch_execz .LBB3_53
; %bb.52:
	s_waitcnt lgkmcnt(0)
	v_cmp_lt_f64_e32 vcc, v[5:6], v[3:4]
	v_cmp_eq_f64_e64 s[0:1], v[5:6], v[3:4]
	v_cmp_eq_u64_e64 s[2:3], 0, v[1:2]
	v_cmp_lt_i64_e64 s[4:5], v[7:8], v[1:2]
	s_or_b64 s[2:3], s[2:3], vcc
	s_and_b64 s[0:1], s[0:1], s[4:5]
	s_or_b64 vcc, s[2:3], s[0:1]
	v_cndmask_b32_e32 v2, v2, v8, vcc
	v_cndmask_b32_e32 v1, v1, v7, vcc
.LBB3_53:
	s_or_b64 exec, exec, s[12:13]
.LBB3_54:
	s_or_b64 exec, exec, s[8:9]
	s_mov_b32 s7, 0
	v_cmp_eq_u32_e32 vcc, 0, v0
	s_and_saveexec_b64 s[0:1], vcc
	s_cbranch_execz .LBB3_56
; %bb.55:
	s_lshl_b64 s[0:1], s[6:7], 3
	s_add_u32 s0, s10, s0
	s_addc_u32 s1, s11, s1
	v_mov_b32_e32 v0, 0
	s_waitcnt lgkmcnt(0)
	global_store_dwordx2 v0, v[1:2], s[0:1]
.LBB3_56:
	s_endpgm
	.section	.rodata,"a",@progbits
	.p2align	6, 0x0
	.amdhsa_kernel _ZL35rocblas_iamax_iamin_kernel_part2_64ILi1024E22rocblas_reduce_amax_6424rocblas_index_64_value_tIdElEviPT1_PT2_
		.amdhsa_group_segment_fixed_size 1024
		.amdhsa_private_segment_fixed_size 0
		.amdhsa_kernarg_size 24
		.amdhsa_user_sgpr_count 6
		.amdhsa_user_sgpr_private_segment_buffer 1
		.amdhsa_user_sgpr_dispatch_ptr 0
		.amdhsa_user_sgpr_queue_ptr 0
		.amdhsa_user_sgpr_kernarg_segment_ptr 1
		.amdhsa_user_sgpr_dispatch_id 0
		.amdhsa_user_sgpr_flat_scratch_init 0
		.amdhsa_user_sgpr_private_segment_size 0
		.amdhsa_uses_dynamic_stack 0
		.amdhsa_system_sgpr_private_segment_wavefront_offset 0
		.amdhsa_system_sgpr_workgroup_id_x 1
		.amdhsa_system_sgpr_workgroup_id_y 0
		.amdhsa_system_sgpr_workgroup_id_z 0
		.amdhsa_system_sgpr_workgroup_info 0
		.amdhsa_system_vgpr_workitem_id 0
		.amdhsa_next_free_vgpr 20
		.amdhsa_next_free_sgpr 16
		.amdhsa_reserve_vcc 1
		.amdhsa_reserve_flat_scratch 0
		.amdhsa_float_round_mode_32 0
		.amdhsa_float_round_mode_16_64 0
		.amdhsa_float_denorm_mode_32 3
		.amdhsa_float_denorm_mode_16_64 3
		.amdhsa_dx10_clamp 1
		.amdhsa_ieee_mode 1
		.amdhsa_fp16_overflow 0
		.amdhsa_exception_fp_ieee_invalid_op 0
		.amdhsa_exception_fp_denorm_src 0
		.amdhsa_exception_fp_ieee_div_zero 0
		.amdhsa_exception_fp_ieee_overflow 0
		.amdhsa_exception_fp_ieee_underflow 0
		.amdhsa_exception_fp_ieee_inexact 0
		.amdhsa_exception_int_div_zero 0
	.end_amdhsa_kernel
	.section	.text._ZL35rocblas_iamax_iamin_kernel_part2_64ILi1024E22rocblas_reduce_amax_6424rocblas_index_64_value_tIdElEviPT1_PT2_,"axG",@progbits,_ZL35rocblas_iamax_iamin_kernel_part2_64ILi1024E22rocblas_reduce_amax_6424rocblas_index_64_value_tIdElEviPT1_PT2_,comdat
.Lfunc_end3:
	.size	_ZL35rocblas_iamax_iamin_kernel_part2_64ILi1024E22rocblas_reduce_amax_6424rocblas_index_64_value_tIdElEviPT1_PT2_, .Lfunc_end3-_ZL35rocblas_iamax_iamin_kernel_part2_64ILi1024E22rocblas_reduce_amax_6424rocblas_index_64_value_tIdElEviPT1_PT2_
                                        ; -- End function
	.set _ZL35rocblas_iamax_iamin_kernel_part2_64ILi1024E22rocblas_reduce_amax_6424rocblas_index_64_value_tIdElEviPT1_PT2_.num_vgpr, 20
	.set _ZL35rocblas_iamax_iamin_kernel_part2_64ILi1024E22rocblas_reduce_amax_6424rocblas_index_64_value_tIdElEviPT1_PT2_.num_agpr, 0
	.set _ZL35rocblas_iamax_iamin_kernel_part2_64ILi1024E22rocblas_reduce_amax_6424rocblas_index_64_value_tIdElEviPT1_PT2_.numbered_sgpr, 16
	.set _ZL35rocblas_iamax_iamin_kernel_part2_64ILi1024E22rocblas_reduce_amax_6424rocblas_index_64_value_tIdElEviPT1_PT2_.num_named_barrier, 0
	.set _ZL35rocblas_iamax_iamin_kernel_part2_64ILi1024E22rocblas_reduce_amax_6424rocblas_index_64_value_tIdElEviPT1_PT2_.private_seg_size, 0
	.set _ZL35rocblas_iamax_iamin_kernel_part2_64ILi1024E22rocblas_reduce_amax_6424rocblas_index_64_value_tIdElEviPT1_PT2_.uses_vcc, 1
	.set _ZL35rocblas_iamax_iamin_kernel_part2_64ILi1024E22rocblas_reduce_amax_6424rocblas_index_64_value_tIdElEviPT1_PT2_.uses_flat_scratch, 0
	.set _ZL35rocblas_iamax_iamin_kernel_part2_64ILi1024E22rocblas_reduce_amax_6424rocblas_index_64_value_tIdElEviPT1_PT2_.has_dyn_sized_stack, 0
	.set _ZL35rocblas_iamax_iamin_kernel_part2_64ILi1024E22rocblas_reduce_amax_6424rocblas_index_64_value_tIdElEviPT1_PT2_.has_recursion, 0
	.set _ZL35rocblas_iamax_iamin_kernel_part2_64ILi1024E22rocblas_reduce_amax_6424rocblas_index_64_value_tIdElEviPT1_PT2_.has_indirect_call, 0
	.section	.AMDGPU.csdata,"",@progbits
; Kernel info:
; codeLenInByte = 2384
; TotalNumSgprs: 20
; NumVgprs: 20
; ScratchSize: 0
; MemoryBound: 0
; FloatMode: 240
; IeeeMode: 1
; LDSByteSize: 1024 bytes/workgroup (compile time only)
; SGPRBlocks: 2
; VGPRBlocks: 4
; NumSGPRsForWavesPerEU: 20
; NumVGPRsForWavesPerEU: 20
; Occupancy: 10
; WaveLimiterHint : 0
; COMPUTE_PGM_RSRC2:SCRATCH_EN: 0
; COMPUTE_PGM_RSRC2:USER_SGPR: 6
; COMPUTE_PGM_RSRC2:TRAP_HANDLER: 0
; COMPUTE_PGM_RSRC2:TGID_X_EN: 1
; COMPUTE_PGM_RSRC2:TGID_Y_EN: 0
; COMPUTE_PGM_RSRC2:TGID_Z_EN: 0
; COMPUTE_PGM_RSRC2:TIDIG_COMP_CNT: 0
	.section	.text._ZL35rocblas_iamax_iamin_kernel_part1_64ILi1024E26rocblas_fetch_amax_amin_64IfE22rocblas_reduce_amax_64PK19rocblas_complex_numIfE24rocblas_index_64_value_tIfEEvlT2_lllPT3_,"axG",@progbits,_ZL35rocblas_iamax_iamin_kernel_part1_64ILi1024E26rocblas_fetch_amax_amin_64IfE22rocblas_reduce_amax_64PK19rocblas_complex_numIfE24rocblas_index_64_value_tIfEEvlT2_lllPT3_,comdat
	.globl	_ZL35rocblas_iamax_iamin_kernel_part1_64ILi1024E26rocblas_fetch_amax_amin_64IfE22rocblas_reduce_amax_64PK19rocblas_complex_numIfE24rocblas_index_64_value_tIfEEvlT2_lllPT3_ ; -- Begin function _ZL35rocblas_iamax_iamin_kernel_part1_64ILi1024E26rocblas_fetch_amax_amin_64IfE22rocblas_reduce_amax_64PK19rocblas_complex_numIfE24rocblas_index_64_value_tIfEEvlT2_lllPT3_
	.p2align	8
	.type	_ZL35rocblas_iamax_iamin_kernel_part1_64ILi1024E26rocblas_fetch_amax_amin_64IfE22rocblas_reduce_amax_64PK19rocblas_complex_numIfE24rocblas_index_64_value_tIfEEvlT2_lllPT3_,@function
_ZL35rocblas_iamax_iamin_kernel_part1_64ILi1024E26rocblas_fetch_amax_amin_64IfE22rocblas_reduce_amax_64PK19rocblas_complex_numIfE24rocblas_index_64_value_tIfEEvlT2_lllPT3_: ; @_ZL35rocblas_iamax_iamin_kernel_part1_64ILi1024E26rocblas_fetch_amax_amin_64IfE22rocblas_reduce_amax_64PK19rocblas_complex_numIfE24rocblas_index_64_value_tIfEEvlT2_lllPT3_
; %bb.0:
	s_load_dwordx8 s[20:27], s[4:5], 0x0
	s_load_dwordx4 s[16:19], s[4:5], 0x20
	s_mov_b32 s10, s7
	s_waitcnt lgkmcnt(0)
	v_cmp_lt_i64_e64 s[0:1], s[20:21], 1
	s_and_b64 vcc, exec, s[0:1]
	s_cbranch_vccnz .LBB4_53
; %bb.1:
	v_mbcnt_lo_u32_b32 v2, -1, 0
	v_mbcnt_hi_u32_b32 v2, -1, v2
	v_and_b32_e32 v3, 63, v2
	v_mov_b32_e32 v4, 0x80
	v_cmp_gt_u32_e32 vcc, 48, v3
	v_lshl_or_b32 v13, v2, 2, v4
	v_cndmask_b32_e64 v4, 0, 16, vcc
	v_cmp_gt_u32_e32 vcc, 56, v3
	v_add_lshl_u32 v14, v4, v2, 2
	v_cndmask_b32_e64 v4, 0, 8, vcc
	v_cmp_gt_u32_e32 vcc, 60, v3
	v_add_lshl_u32 v15, v4, v2, 2
	v_cndmask_b32_e64 v4, 0, 4, vcc
	v_cmp_gt_u32_e32 vcc, 62, v3
	v_and_b32_e32 v1, 63, v0
	v_add_lshl_u32 v16, v4, v2, 2
	v_cndmask_b32_e64 v4, 0, 2, vcc
	v_cmp_ne_u32_e32 vcc, 63, v3
	v_lshlrev_b32_e32 v12, 4, v1
	v_add_lshl_u32 v17, v4, v2, 2
	v_addc_co_u32_e32 v2, vcc, 0, v2, vcc
	v_cmp_eq_u32_e64 s[2:3], 0, v1
	v_lshrrev_b32_e32 v1, 2, v0
	v_lshl_or_b32 v20, s6, 10, v0
	v_lshlrev_b32_e32 v18, 2, v2
	s_load_dword s7, s[4:5], 0x30
	v_and_b32_e32 v19, 0xf0, v1
	v_mad_u64_u32 v[1:2], s[12:13], s26, v20, 0
	s_mul_i32 s11, s17, s10
	s_mul_hi_u32 s12, s16, s10
	s_add_i32 s13, s12, s11
	v_mad_u64_u32 v[2:3], s[14:15], s27, v20, v[2:3]
	s_mul_i32 s12, s16, s10
	s_waitcnt lgkmcnt(0)
	s_lshl_b32 s7, s7, 10
	s_lshl_b64 s[12:13], s[12:13], 3
	s_lshl_b64 s[14:15], s[24:25], 3
	s_add_u32 s11, s22, s14
	s_addc_u32 s14, s23, s15
	v_lshlrev_b64 v[1:2], 3, v[1:2]
	s_add_u32 s11, s11, s12
	s_addc_u32 s12, s14, s13
	v_mov_b32_e32 v3, s12
	v_add_co_u32_e64 v1, s[12:13], s11, v1
	v_addc_co_u32_e64 v2, s[12:13], v3, v2, s[12:13]
	v_add_co_u32_e64 v6, s[12:13], 4, v1
	v_addc_co_u32_e64 v7, s[12:13], 0, v2, s[12:13]
	s_mul_i32 s11, s27, s7
	s_mul_hi_u32 s12, s26, s7
	v_cmp_ne_u32_e32 vcc, 0, v0
	s_add_i32 s13, s12, s11
	s_mul_i32 s12, s26, s7
	v_mov_b32_e32 v1, 0
	v_cmp_gt_u32_e64 s[0:1], 64, v0
	v_cmp_gt_u32_e64 s[8:9], 16, v0
	v_mov_b32_e32 v4, 0
	s_lshl_b64 s[22:23], s[12:13], 3
	s_mov_b64 s[24:25], 0
	v_mov_b32_e32 v2, 0
	s_xor_b64 s[26:27], vcc, -1
                                        ; implicit-def: $vgpr21
	s_branch .LBB4_4
.LBB4_2:                                ;   in Loop: Header=BB4_4 Depth=1
	s_or_b64 exec, exec, s[16:17]
	v_mov_b32_e32 v1, v8
	v_mov_b32_e32 v2, v9
	;; [unrolled: 1-line block ×3, first 2 shown]
.LBB4_3:                                ;   in Loop: Header=BB4_4 Depth=1
	s_or_b64 exec, exec, s[14:15]
	s_add_u32 s24, s24, s7
	v_mov_b32_e32 v8, s20
	s_addc_u32 s25, s25, 0
	v_mov_b32_e32 v9, s21
	v_cmp_ge_i64_e32 vcc, s[24:25], v[8:9]
	v_mov_b32_e32 v5, s23
	v_add_co_u32_e64 v6, s[12:13], s22, v6
	v_addc_co_u32_e64 v7, s[12:13], v7, v5, s[12:13]
	s_cbranch_vccnz .LBB4_54
.LBB4_4:                                ; =>This Inner Loop Header: Depth=1
	v_mov_b32_e32 v5, s25
	v_add_co_u32_e32 v10, vcc, s24, v20
	v_addc_co_u32_e32 v11, vcc, 0, v5, vcc
	v_cmp_gt_i64_e32 vcc, s[20:21], v[10:11]
	v_mov_b32_e32 v8, 0
	v_mov_b32_e32 v9, 0
	s_and_saveexec_b64 s[12:13], vcc
	s_cbranch_execz .LBB4_6
; %bb.5:                                ;   in Loop: Header=BB4_4 Depth=1
	s_waitcnt lgkmcnt(0)
	global_load_dwordx2 v[21:22], v[6:7], off offset:-4
	v_add_co_u32_e32 v8, vcc, 1, v10
	v_addc_co_u32_e32 v9, vcc, 0, v11, vcc
	s_waitcnt vmcnt(0)
	v_cmp_gt_f32_e32 vcc, 0, v21
	v_cndmask_b32_e64 v5, v21, -v21, vcc
	v_cmp_gt_f32_e32 vcc, 0, v22
	v_cndmask_b32_e64 v10, v22, -v22, vcc
	v_add_f32_e32 v21, v5, v10
.LBB4_6:                                ;   in Loop: Header=BB4_4 Depth=1
	s_or_b64 exec, exec, s[12:13]
	s_and_saveexec_b64 s[12:13], s[0:1]
	s_cbranch_execz .LBB4_8
; %bb.7:                                ;   in Loop: Header=BB4_4 Depth=1
	v_mov_b32_e32 v5, v4
	ds_write_b64 v12, v[4:5]
	ds_write_b32 v12, v4 offset:8
.LBB4_8:                                ;   in Loop: Header=BB4_4 Depth=1
	s_or_b64 exec, exec, s[12:13]
	ds_bpermute_b32 v10, v13, v8
	ds_bpermute_b32 v11, v13, v9
	s_waitcnt lgkmcnt(2)
	ds_bpermute_b32 v22, v13, v21
	v_mov_b32_e32 v5, v21
	s_waitcnt lgkmcnt(0)
	s_barrier
	v_cmp_ne_u64_e32 vcc, 0, v[10:11]
	s_and_saveexec_b64 s[14:15], vcc
	s_cbranch_execz .LBB4_12
; %bb.9:                                ;   in Loop: Header=BB4_4 Depth=1
	v_cmp_ne_u64_e32 vcc, 0, v[8:9]
	v_cmp_nlt_f32_e64 s[12:13], v21, v22
	s_and_b64 s[12:13], vcc, s[12:13]
	s_and_saveexec_b64 s[16:17], s[12:13]
; %bb.10:                               ;   in Loop: Header=BB4_4 Depth=1
	v_cmp_lt_i64_e32 vcc, v[10:11], v[8:9]
	v_cmp_eq_f32_e64 s[12:13], v21, v22
	v_cndmask_b32_e32 v5, v9, v11, vcc
	s_and_b64 vcc, s[12:13], vcc
	v_cndmask_b32_e64 v11, v9, v5, s[12:13]
	v_cndmask_b32_e32 v10, v8, v10, vcc
	v_mov_b32_e32 v22, v21
; %bb.11:                               ;   in Loop: Header=BB4_4 Depth=1
	s_or_b64 exec, exec, s[16:17]
	v_mov_b32_e32 v8, v10
	v_mov_b32_e32 v21, v22
	;; [unrolled: 1-line block ×4, first 2 shown]
.LBB4_12:                               ;   in Loop: Header=BB4_4 Depth=1
	s_or_b64 exec, exec, s[14:15]
	ds_bpermute_b32 v10, v14, v8
	ds_bpermute_b32 v11, v14, v9
	;; [unrolled: 1-line block ×3, first 2 shown]
	s_waitcnt lgkmcnt(1)
	v_cmp_ne_u64_e32 vcc, 0, v[10:11]
	s_and_saveexec_b64 s[14:15], vcc
	s_cbranch_execz .LBB4_16
; %bb.13:                               ;   in Loop: Header=BB4_4 Depth=1
	v_cmp_ne_u64_e32 vcc, 0, v[8:9]
	s_waitcnt lgkmcnt(0)
	v_cmp_nlt_f32_e64 s[12:13], v5, v22
	s_and_b64 s[12:13], vcc, s[12:13]
	v_mov_b32_e32 v23, v22
	s_and_saveexec_b64 s[16:17], s[12:13]
; %bb.14:                               ;   in Loop: Header=BB4_4 Depth=1
	v_cmp_lt_i64_e32 vcc, v[10:11], v[8:9]
	v_cmp_eq_f32_e64 s[12:13], v5, v22
	v_cndmask_b32_e32 v11, v9, v11, vcc
	s_and_b64 vcc, s[12:13], vcc
	v_cndmask_b32_e64 v11, v9, v11, s[12:13]
	v_cndmask_b32_e32 v10, v8, v10, vcc
	v_mov_b32_e32 v23, v5
	v_mov_b32_e32 v22, v21
; %bb.15:                               ;   in Loop: Header=BB4_4 Depth=1
	s_or_b64 exec, exec, s[16:17]
	v_mov_b32_e32 v8, v10
	v_mov_b32_e32 v21, v22
	v_mov_b32_e32 v9, v11
	v_mov_b32_e32 v5, v23
.LBB4_16:                               ;   in Loop: Header=BB4_4 Depth=1
	s_or_b64 exec, exec, s[14:15]
	ds_bpermute_b32 v10, v15, v8
	ds_bpermute_b32 v11, v15, v9
	s_waitcnt lgkmcnt(2)
	ds_bpermute_b32 v22, v15, v21
	s_waitcnt lgkmcnt(1)
	v_cmp_ne_u64_e32 vcc, 0, v[10:11]
	s_and_saveexec_b64 s[14:15], vcc
	s_cbranch_execz .LBB4_20
; %bb.17:                               ;   in Loop: Header=BB4_4 Depth=1
	v_cmp_ne_u64_e32 vcc, 0, v[8:9]
	s_waitcnt lgkmcnt(0)
	v_cmp_nlt_f32_e64 s[12:13], v5, v22
	s_and_b64 s[12:13], vcc, s[12:13]
	v_mov_b32_e32 v23, v22
	s_and_saveexec_b64 s[16:17], s[12:13]
; %bb.18:                               ;   in Loop: Header=BB4_4 Depth=1
	v_cmp_lt_i64_e32 vcc, v[10:11], v[8:9]
	v_cmp_eq_f32_e64 s[12:13], v5, v22
	v_cndmask_b32_e32 v11, v9, v11, vcc
	s_and_b64 vcc, s[12:13], vcc
	v_cndmask_b32_e64 v11, v9, v11, s[12:13]
	v_cndmask_b32_e32 v10, v8, v10, vcc
	v_mov_b32_e32 v23, v5
	v_mov_b32_e32 v22, v21
; %bb.19:                               ;   in Loop: Header=BB4_4 Depth=1
	s_or_b64 exec, exec, s[16:17]
	v_mov_b32_e32 v8, v10
	v_mov_b32_e32 v21, v22
	v_mov_b32_e32 v9, v11
	v_mov_b32_e32 v5, v23
.LBB4_20:                               ;   in Loop: Header=BB4_4 Depth=1
	s_or_b64 exec, exec, s[14:15]
	ds_bpermute_b32 v10, v16, v8
	ds_bpermute_b32 v11, v16, v9
	s_waitcnt lgkmcnt(2)
	ds_bpermute_b32 v22, v16, v21
	;; [unrolled: 32-line block ×3, first 2 shown]
	s_waitcnt lgkmcnt(1)
	v_cmp_ne_u64_e32 vcc, 0, v[10:11]
	s_and_saveexec_b64 s[14:15], vcc
	s_cbranch_execz .LBB4_28
; %bb.25:                               ;   in Loop: Header=BB4_4 Depth=1
	v_cmp_ne_u64_e32 vcc, 0, v[8:9]
	s_waitcnt lgkmcnt(0)
	v_cmp_nlt_f32_e64 s[12:13], v5, v22
	s_and_b64 s[12:13], vcc, s[12:13]
	v_mov_b32_e32 v23, v22
	s_and_saveexec_b64 s[16:17], s[12:13]
; %bb.26:                               ;   in Loop: Header=BB4_4 Depth=1
	v_cmp_lt_i64_e32 vcc, v[10:11], v[8:9]
	v_cmp_eq_f32_e64 s[12:13], v5, v22
	v_cndmask_b32_e32 v11, v9, v11, vcc
	s_and_b64 vcc, s[12:13], vcc
	v_cndmask_b32_e64 v11, v9, v11, s[12:13]
	v_cndmask_b32_e32 v10, v8, v10, vcc
	v_mov_b32_e32 v23, v5
	v_mov_b32_e32 v22, v21
; %bb.27:                               ;   in Loop: Header=BB4_4 Depth=1
	s_or_b64 exec, exec, s[16:17]
	v_mov_b32_e32 v8, v10
	v_mov_b32_e32 v21, v22
	;; [unrolled: 1-line block ×4, first 2 shown]
.LBB4_28:                               ;   in Loop: Header=BB4_4 Depth=1
	s_or_b64 exec, exec, s[14:15]
	ds_bpermute_b32 v10, v18, v8
	ds_bpermute_b32 v11, v18, v9
	;; [unrolled: 1-line block ×3, first 2 shown]
	s_waitcnt lgkmcnt(1)
	v_cmp_ne_u64_e32 vcc, 0, v[10:11]
	s_and_saveexec_b64 s[28:29], vcc
	s_cbranch_execz .LBB4_30
; %bb.29:                               ;   in Loop: Header=BB4_4 Depth=1
	v_cmp_eq_u64_e32 vcc, 0, v[8:9]
	v_cmp_lt_i64_e64 s[14:15], v[10:11], v[8:9]
	s_waitcnt lgkmcnt(0)
	v_cmp_lt_f32_e64 s[12:13], v5, v21
	v_cmp_eq_f32_e64 s[16:17], v5, v21
	s_and_b64 s[14:15], s[16:17], s[14:15]
	s_or_b64 vcc, vcc, s[12:13]
	v_cndmask_b32_e64 v9, v9, v11, s[14:15]
	s_or_b64 s[12:13], vcc, s[14:15]
	v_cndmask_b32_e32 v9, v9, v11, vcc
	v_cndmask_b32_e64 v8, v8, v10, s[12:13]
	v_cndmask_b32_e32 v5, v5, v21, vcc
.LBB4_30:                               ;   in Loop: Header=BB4_4 Depth=1
	s_or_b64 exec, exec, s[28:29]
	s_and_saveexec_b64 s[12:13], s[2:3]
	s_cbranch_execz .LBB4_32
; %bb.31:                               ;   in Loop: Header=BB4_4 Depth=1
	ds_write_b64 v19, v[8:9]
	ds_write_b32 v19, v5 offset:8
.LBB4_32:                               ;   in Loop: Header=BB4_4 Depth=1
	s_or_b64 exec, exec, s[12:13]
	v_mov_b32_e32 v8, 0
	v_mov_b32_e32 v9, 0
	s_waitcnt lgkmcnt(0)
	v_mov_b32_e32 v21, 0
	s_barrier
	s_and_saveexec_b64 s[12:13], s[8:9]
	s_cbranch_execz .LBB4_34
; %bb.33:                               ;   in Loop: Header=BB4_4 Depth=1
	ds_read_b64 v[8:9], v12
	ds_read_b32 v21, v12 offset:8
.LBB4_34:                               ;   in Loop: Header=BB4_4 Depth=1
	s_or_b64 exec, exec, s[12:13]
	s_and_saveexec_b64 s[28:29], s[0:1]
	s_cbranch_execz .LBB4_50
; %bb.35:                               ;   in Loop: Header=BB4_4 Depth=1
	s_waitcnt lgkmcnt(1)
	ds_bpermute_b32 v10, v15, v8
	ds_bpermute_b32 v11, v15, v9
	s_waitcnt lgkmcnt(2)
	ds_bpermute_b32 v22, v15, v21
	v_mov_b32_e32 v5, v21
	s_waitcnt lgkmcnt(1)
	v_cmp_ne_u64_e32 vcc, 0, v[10:11]
	s_and_saveexec_b64 s[14:15], vcc
	s_cbranch_execz .LBB4_39
; %bb.36:                               ;   in Loop: Header=BB4_4 Depth=1
	v_cmp_ne_u64_e32 vcc, 0, v[8:9]
	s_waitcnt lgkmcnt(0)
	v_cmp_nlt_f32_e64 s[12:13], v21, v22
	s_and_b64 s[12:13], vcc, s[12:13]
	s_and_saveexec_b64 s[16:17], s[12:13]
; %bb.37:                               ;   in Loop: Header=BB4_4 Depth=1
	v_cmp_lt_i64_e32 vcc, v[10:11], v[8:9]
	v_cmp_eq_f32_e64 s[12:13], v21, v22
	v_cndmask_b32_e32 v5, v9, v11, vcc
	s_and_b64 vcc, s[12:13], vcc
	v_cndmask_b32_e64 v11, v9, v5, s[12:13]
	v_cndmask_b32_e32 v10, v8, v10, vcc
	v_mov_b32_e32 v22, v21
; %bb.38:                               ;   in Loop: Header=BB4_4 Depth=1
	s_or_b64 exec, exec, s[16:17]
	v_mov_b32_e32 v8, v10
	v_mov_b32_e32 v21, v22
	;; [unrolled: 1-line block ×4, first 2 shown]
.LBB4_39:                               ;   in Loop: Header=BB4_4 Depth=1
	s_or_b64 exec, exec, s[14:15]
	ds_bpermute_b32 v10, v16, v8
	ds_bpermute_b32 v11, v16, v9
	s_waitcnt lgkmcnt(2)
	ds_bpermute_b32 v22, v16, v21
	s_waitcnt lgkmcnt(1)
	v_cmp_ne_u64_e32 vcc, 0, v[10:11]
	s_and_saveexec_b64 s[14:15], vcc
	s_cbranch_execz .LBB4_43
; %bb.40:                               ;   in Loop: Header=BB4_4 Depth=1
	v_cmp_ne_u64_e32 vcc, 0, v[8:9]
	s_waitcnt lgkmcnt(0)
	v_cmp_nlt_f32_e64 s[12:13], v5, v22
	s_and_b64 s[12:13], vcc, s[12:13]
	v_mov_b32_e32 v23, v22
	s_and_saveexec_b64 s[16:17], s[12:13]
; %bb.41:                               ;   in Loop: Header=BB4_4 Depth=1
	v_cmp_lt_i64_e32 vcc, v[10:11], v[8:9]
	v_cmp_eq_f32_e64 s[12:13], v5, v22
	v_cndmask_b32_e32 v11, v9, v11, vcc
	s_and_b64 vcc, s[12:13], vcc
	v_cndmask_b32_e64 v11, v9, v11, s[12:13]
	v_cndmask_b32_e32 v10, v8, v10, vcc
	v_mov_b32_e32 v23, v5
	v_mov_b32_e32 v22, v21
; %bb.42:                               ;   in Loop: Header=BB4_4 Depth=1
	s_or_b64 exec, exec, s[16:17]
	v_mov_b32_e32 v8, v10
	v_mov_b32_e32 v21, v22
	;; [unrolled: 1-line block ×4, first 2 shown]
.LBB4_43:                               ;   in Loop: Header=BB4_4 Depth=1
	s_or_b64 exec, exec, s[14:15]
	ds_bpermute_b32 v10, v17, v8
	ds_bpermute_b32 v11, v17, v9
	s_waitcnt lgkmcnt(2)
	ds_bpermute_b32 v22, v17, v21
	s_waitcnt lgkmcnt(1)
	v_cmp_ne_u64_e32 vcc, 0, v[10:11]
	s_and_saveexec_b64 s[14:15], vcc
	s_cbranch_execz .LBB4_47
; %bb.44:                               ;   in Loop: Header=BB4_4 Depth=1
	v_cmp_ne_u64_e32 vcc, 0, v[8:9]
	s_waitcnt lgkmcnt(0)
	v_cmp_nlt_f32_e64 s[12:13], v5, v22
	s_and_b64 s[12:13], vcc, s[12:13]
	v_mov_b32_e32 v23, v22
	s_and_saveexec_b64 s[16:17], s[12:13]
; %bb.45:                               ;   in Loop: Header=BB4_4 Depth=1
	v_cmp_lt_i64_e32 vcc, v[10:11], v[8:9]
	v_cmp_eq_f32_e64 s[12:13], v5, v22
	v_cndmask_b32_e32 v11, v9, v11, vcc
	s_and_b64 vcc, s[12:13], vcc
	v_cndmask_b32_e64 v11, v9, v11, s[12:13]
	v_cndmask_b32_e32 v10, v8, v10, vcc
	v_mov_b32_e32 v23, v5
	v_mov_b32_e32 v22, v21
; %bb.46:                               ;   in Loop: Header=BB4_4 Depth=1
	s_or_b64 exec, exec, s[16:17]
	v_mov_b32_e32 v8, v10
	v_mov_b32_e32 v21, v22
	;; [unrolled: 1-line block ×4, first 2 shown]
.LBB4_47:                               ;   in Loop: Header=BB4_4 Depth=1
	s_or_b64 exec, exec, s[14:15]
	ds_bpermute_b32 v10, v18, v8
	ds_bpermute_b32 v11, v18, v9
	;; [unrolled: 1-line block ×3, first 2 shown]
	s_waitcnt lgkmcnt(1)
	v_cmp_ne_u64_e32 vcc, 0, v[10:11]
	s_and_saveexec_b64 s[30:31], vcc
	s_cbranch_execz .LBB4_49
; %bb.48:                               ;   in Loop: Header=BB4_4 Depth=1
	v_cmp_eq_u64_e32 vcc, 0, v[8:9]
	v_cmp_lt_i64_e64 s[14:15], v[10:11], v[8:9]
	s_waitcnt lgkmcnt(0)
	v_cmp_lt_f32_e64 s[12:13], v5, v21
	v_cmp_eq_f32_e64 s[16:17], v5, v21
	s_and_b64 s[14:15], s[16:17], s[14:15]
	s_or_b64 vcc, vcc, s[12:13]
	v_cndmask_b32_e64 v9, v9, v11, s[14:15]
	s_or_b64 s[12:13], vcc, s[14:15]
	v_cndmask_b32_e32 v9, v9, v11, vcc
	v_cndmask_b32_e64 v8, v8, v10, s[12:13]
	v_cndmask_b32_e32 v5, v5, v21, vcc
.LBB4_49:                               ;   in Loop: Header=BB4_4 Depth=1
	s_or_b64 exec, exec, s[30:31]
	s_waitcnt lgkmcnt(0)
	v_mov_b32_e32 v21, v5
.LBB4_50:                               ;   in Loop: Header=BB4_4 Depth=1
	s_or_b64 exec, exec, s[28:29]
	s_waitcnt lgkmcnt(1)
	v_cmp_ne_u64_e32 vcc, 0, v[8:9]
	s_and_b64 s[12:13], s[26:27], vcc
	s_and_saveexec_b64 s[14:15], s[12:13]
	s_cbranch_execz .LBB4_3
; %bb.51:                               ;   in Loop: Header=BB4_4 Depth=1
	v_cmp_ne_u64_e32 vcc, 0, v[1:2]
	s_waitcnt lgkmcnt(0)
	v_cmp_ngt_f32_e64 s[12:13], v21, v3
	s_and_b64 s[12:13], vcc, s[12:13]
	v_mov_b32_e32 v5, v21
	s_and_saveexec_b64 s[16:17], s[12:13]
	s_cbranch_execz .LBB4_2
; %bb.52:                               ;   in Loop: Header=BB4_4 Depth=1
	v_cmp_lt_i64_e32 vcc, v[8:9], v[1:2]
	v_cmp_eq_f32_e64 s[12:13], v3, v21
	v_cndmask_b32_e32 v5, v2, v9, vcc
	s_and_b64 vcc, s[12:13], vcc
	v_cndmask_b32_e64 v9, v2, v5, s[12:13]
	v_cndmask_b32_e32 v8, v1, v8, vcc
	v_mov_b32_e32 v5, v3
	s_branch .LBB4_2
.LBB4_53:
	v_mov_b32_e32 v1, 0
	v_mov_b32_e32 v2, 0
.LBB4_54:
	s_mov_b32 s7, 0
	v_cmp_eq_u32_e32 vcc, 0, v0
	s_and_saveexec_b64 s[0:1], vcc
	s_cbranch_execz .LBB4_56
; %bb.55:
	s_load_dword s0, s[4:5], 0x30
	v_mov_b32_e32 v0, 0
	s_waitcnt lgkmcnt(0)
	s_mul_hi_u32 s1, s0, s10
	s_mul_i32 s0, s0, s10
	s_lshl_b64 s[0:1], s[0:1], 4
	s_add_u32 s2, s18, s0
	s_addc_u32 s3, s19, s1
	s_lshl_b64 s[0:1], s[6:7], 4
	s_add_u32 s0, s2, s0
	s_addc_u32 s1, s3, s1
	global_store_dwordx3 v0, v[1:3], s[0:1]
.LBB4_56:
	s_endpgm
	.section	.rodata,"a",@progbits
	.p2align	6, 0x0
	.amdhsa_kernel _ZL35rocblas_iamax_iamin_kernel_part1_64ILi1024E26rocblas_fetch_amax_amin_64IfE22rocblas_reduce_amax_64PK19rocblas_complex_numIfE24rocblas_index_64_value_tIfEEvlT2_lllPT3_
		.amdhsa_group_segment_fixed_size 1024
		.amdhsa_private_segment_fixed_size 0
		.amdhsa_kernarg_size 304
		.amdhsa_user_sgpr_count 6
		.amdhsa_user_sgpr_private_segment_buffer 1
		.amdhsa_user_sgpr_dispatch_ptr 0
		.amdhsa_user_sgpr_queue_ptr 0
		.amdhsa_user_sgpr_kernarg_segment_ptr 1
		.amdhsa_user_sgpr_dispatch_id 0
		.amdhsa_user_sgpr_flat_scratch_init 0
		.amdhsa_user_sgpr_private_segment_size 0
		.amdhsa_uses_dynamic_stack 0
		.amdhsa_system_sgpr_private_segment_wavefront_offset 0
		.amdhsa_system_sgpr_workgroup_id_x 1
		.amdhsa_system_sgpr_workgroup_id_y 0
		.amdhsa_system_sgpr_workgroup_id_z 1
		.amdhsa_system_sgpr_workgroup_info 0
		.amdhsa_system_vgpr_workitem_id 0
		.amdhsa_next_free_vgpr 24
		.amdhsa_next_free_sgpr 32
		.amdhsa_reserve_vcc 1
		.amdhsa_reserve_flat_scratch 0
		.amdhsa_float_round_mode_32 0
		.amdhsa_float_round_mode_16_64 0
		.amdhsa_float_denorm_mode_32 3
		.amdhsa_float_denorm_mode_16_64 3
		.amdhsa_dx10_clamp 1
		.amdhsa_ieee_mode 1
		.amdhsa_fp16_overflow 0
		.amdhsa_exception_fp_ieee_invalid_op 0
		.amdhsa_exception_fp_denorm_src 0
		.amdhsa_exception_fp_ieee_div_zero 0
		.amdhsa_exception_fp_ieee_overflow 0
		.amdhsa_exception_fp_ieee_underflow 0
		.amdhsa_exception_fp_ieee_inexact 0
		.amdhsa_exception_int_div_zero 0
	.end_amdhsa_kernel
	.section	.text._ZL35rocblas_iamax_iamin_kernel_part1_64ILi1024E26rocblas_fetch_amax_amin_64IfE22rocblas_reduce_amax_64PK19rocblas_complex_numIfE24rocblas_index_64_value_tIfEEvlT2_lllPT3_,"axG",@progbits,_ZL35rocblas_iamax_iamin_kernel_part1_64ILi1024E26rocblas_fetch_amax_amin_64IfE22rocblas_reduce_amax_64PK19rocblas_complex_numIfE24rocblas_index_64_value_tIfEEvlT2_lllPT3_,comdat
.Lfunc_end4:
	.size	_ZL35rocblas_iamax_iamin_kernel_part1_64ILi1024E26rocblas_fetch_amax_amin_64IfE22rocblas_reduce_amax_64PK19rocblas_complex_numIfE24rocblas_index_64_value_tIfEEvlT2_lllPT3_, .Lfunc_end4-_ZL35rocblas_iamax_iamin_kernel_part1_64ILi1024E26rocblas_fetch_amax_amin_64IfE22rocblas_reduce_amax_64PK19rocblas_complex_numIfE24rocblas_index_64_value_tIfEEvlT2_lllPT3_
                                        ; -- End function
	.set _ZL35rocblas_iamax_iamin_kernel_part1_64ILi1024E26rocblas_fetch_amax_amin_64IfE22rocblas_reduce_amax_64PK19rocblas_complex_numIfE24rocblas_index_64_value_tIfEEvlT2_lllPT3_.num_vgpr, 24
	.set _ZL35rocblas_iamax_iamin_kernel_part1_64ILi1024E26rocblas_fetch_amax_amin_64IfE22rocblas_reduce_amax_64PK19rocblas_complex_numIfE24rocblas_index_64_value_tIfEEvlT2_lllPT3_.num_agpr, 0
	.set _ZL35rocblas_iamax_iamin_kernel_part1_64ILi1024E26rocblas_fetch_amax_amin_64IfE22rocblas_reduce_amax_64PK19rocblas_complex_numIfE24rocblas_index_64_value_tIfEEvlT2_lllPT3_.numbered_sgpr, 32
	.set _ZL35rocblas_iamax_iamin_kernel_part1_64ILi1024E26rocblas_fetch_amax_amin_64IfE22rocblas_reduce_amax_64PK19rocblas_complex_numIfE24rocblas_index_64_value_tIfEEvlT2_lllPT3_.num_named_barrier, 0
	.set _ZL35rocblas_iamax_iamin_kernel_part1_64ILi1024E26rocblas_fetch_amax_amin_64IfE22rocblas_reduce_amax_64PK19rocblas_complex_numIfE24rocblas_index_64_value_tIfEEvlT2_lllPT3_.private_seg_size, 0
	.set _ZL35rocblas_iamax_iamin_kernel_part1_64ILi1024E26rocblas_fetch_amax_amin_64IfE22rocblas_reduce_amax_64PK19rocblas_complex_numIfE24rocblas_index_64_value_tIfEEvlT2_lllPT3_.uses_vcc, 1
	.set _ZL35rocblas_iamax_iamin_kernel_part1_64ILi1024E26rocblas_fetch_amax_amin_64IfE22rocblas_reduce_amax_64PK19rocblas_complex_numIfE24rocblas_index_64_value_tIfEEvlT2_lllPT3_.uses_flat_scratch, 0
	.set _ZL35rocblas_iamax_iamin_kernel_part1_64ILi1024E26rocblas_fetch_amax_amin_64IfE22rocblas_reduce_amax_64PK19rocblas_complex_numIfE24rocblas_index_64_value_tIfEEvlT2_lllPT3_.has_dyn_sized_stack, 0
	.set _ZL35rocblas_iamax_iamin_kernel_part1_64ILi1024E26rocblas_fetch_amax_amin_64IfE22rocblas_reduce_amax_64PK19rocblas_complex_numIfE24rocblas_index_64_value_tIfEEvlT2_lllPT3_.has_recursion, 0
	.set _ZL35rocblas_iamax_iamin_kernel_part1_64ILi1024E26rocblas_fetch_amax_amin_64IfE22rocblas_reduce_amax_64PK19rocblas_complex_numIfE24rocblas_index_64_value_tIfEEvlT2_lllPT3_.has_indirect_call, 0
	.section	.AMDGPU.csdata,"",@progbits
; Kernel info:
; codeLenInByte = 2144
; TotalNumSgprs: 36
; NumVgprs: 24
; ScratchSize: 0
; MemoryBound: 0
; FloatMode: 240
; IeeeMode: 1
; LDSByteSize: 1024 bytes/workgroup (compile time only)
; SGPRBlocks: 4
; VGPRBlocks: 5
; NumSGPRsForWavesPerEU: 36
; NumVGPRsForWavesPerEU: 24
; Occupancy: 10
; WaveLimiterHint : 0
; COMPUTE_PGM_RSRC2:SCRATCH_EN: 0
; COMPUTE_PGM_RSRC2:USER_SGPR: 6
; COMPUTE_PGM_RSRC2:TRAP_HANDLER: 0
; COMPUTE_PGM_RSRC2:TGID_X_EN: 1
; COMPUTE_PGM_RSRC2:TGID_Y_EN: 0
; COMPUTE_PGM_RSRC2:TGID_Z_EN: 1
; COMPUTE_PGM_RSRC2:TIDIG_COMP_CNT: 0
	.section	.text._ZL35rocblas_iamax_iamin_kernel_part1_64ILi1024E26rocblas_fetch_amax_amin_64IdE22rocblas_reduce_amax_64PK19rocblas_complex_numIdE24rocblas_index_64_value_tIdEEvlT2_lllPT3_,"axG",@progbits,_ZL35rocblas_iamax_iamin_kernel_part1_64ILi1024E26rocblas_fetch_amax_amin_64IdE22rocblas_reduce_amax_64PK19rocblas_complex_numIdE24rocblas_index_64_value_tIdEEvlT2_lllPT3_,comdat
	.globl	_ZL35rocblas_iamax_iamin_kernel_part1_64ILi1024E26rocblas_fetch_amax_amin_64IdE22rocblas_reduce_amax_64PK19rocblas_complex_numIdE24rocblas_index_64_value_tIdEEvlT2_lllPT3_ ; -- Begin function _ZL35rocblas_iamax_iamin_kernel_part1_64ILi1024E26rocblas_fetch_amax_amin_64IdE22rocblas_reduce_amax_64PK19rocblas_complex_numIdE24rocblas_index_64_value_tIdEEvlT2_lllPT3_
	.p2align	8
	.type	_ZL35rocblas_iamax_iamin_kernel_part1_64ILi1024E26rocblas_fetch_amax_amin_64IdE22rocblas_reduce_amax_64PK19rocblas_complex_numIdE24rocblas_index_64_value_tIdEEvlT2_lllPT3_,@function
_ZL35rocblas_iamax_iamin_kernel_part1_64ILi1024E26rocblas_fetch_amax_amin_64IdE22rocblas_reduce_amax_64PK19rocblas_complex_numIdE24rocblas_index_64_value_tIdEEvlT2_lllPT3_: ; @_ZL35rocblas_iamax_iamin_kernel_part1_64ILi1024E26rocblas_fetch_amax_amin_64IdE22rocblas_reduce_amax_64PK19rocblas_complex_numIdE24rocblas_index_64_value_tIdEEvlT2_lllPT3_
; %bb.0:
	s_load_dwordx8 s[20:27], s[4:5], 0x0
	s_load_dwordx4 s[16:19], s[4:5], 0x20
	s_mov_b32 s10, s7
	s_waitcnt lgkmcnt(0)
	v_cmp_lt_i64_e64 s[0:1], s[20:21], 1
	s_and_b64 vcc, exec, s[0:1]
	s_cbranch_vccnz .LBB5_53
; %bb.1:
	v_mbcnt_lo_u32_b32 v2, -1, 0
	v_mbcnt_hi_u32_b32 v2, -1, v2
	v_and_b32_e32 v3, 63, v2
	v_mov_b32_e32 v4, 0x80
	v_cmp_gt_u32_e32 vcc, 48, v3
	v_lshl_or_b32 v22, v2, 2, v4
	v_cndmask_b32_e64 v4, 0, 16, vcc
	v_cmp_gt_u32_e32 vcc, 56, v3
	v_add_lshl_u32 v23, v4, v2, 2
	v_cndmask_b32_e64 v4, 0, 8, vcc
	v_cmp_gt_u32_e32 vcc, 60, v3
	v_add_lshl_u32 v24, v4, v2, 2
	v_cndmask_b32_e64 v4, 0, 4, vcc
	v_cmp_gt_u32_e32 vcc, 62, v3
	v_and_b32_e32 v1, 63, v0
	v_add_lshl_u32 v25, v4, v2, 2
	v_cndmask_b32_e64 v4, 0, 2, vcc
	v_cmp_ne_u32_e32 vcc, 63, v3
	v_lshlrev_b32_e32 v21, 4, v1
	v_add_lshl_u32 v26, v4, v2, 2
	v_addc_co_u32_e32 v2, vcc, 0, v2, vcc
	v_cmp_eq_u32_e64 s[2:3], 0, v1
	v_lshrrev_b32_e32 v1, 2, v0
	v_lshl_or_b32 v29, s6, 10, v0
	v_lshlrev_b32_e32 v27, 2, v2
	s_load_dword s7, s[4:5], 0x30
	v_and_b32_e32 v28, 0xf0, v1
	v_mad_u64_u32 v[1:2], s[12:13], s26, v29, 0
	s_mul_i32 s11, s17, s10
	s_mul_hi_u32 s12, s16, s10
	s_add_i32 s13, s12, s11
	v_mad_u64_u32 v[2:3], s[14:15], s27, v29, v[2:3]
	s_mul_i32 s12, s16, s10
	s_waitcnt lgkmcnt(0)
	s_lshl_b32 s7, s7, 10
	s_lshl_b64 s[12:13], s[12:13], 4
	s_lshl_b64 s[14:15], s[24:25], 4
	s_add_u32 s11, s22, s14
	s_addc_u32 s14, s23, s15
	v_lshlrev_b64 v[1:2], 4, v[1:2]
	s_add_u32 s11, s11, s12
	s_addc_u32 s12, s14, s13
	v_mov_b32_e32 v3, s12
	v_add_co_u32_e64 v1, s[12:13], s11, v1
	v_addc_co_u32_e64 v2, s[12:13], v3, v2, s[12:13]
	v_add_co_u32_e64 v15, s[12:13], 8, v1
	v_addc_co_u32_e64 v16, s[12:13], 0, v2, s[12:13]
	s_mul_i32 s11, s27, s7
	s_mul_hi_u32 s12, s26, s7
	v_cmp_ne_u32_e32 vcc, 0, v0
	s_add_i32 s13, s12, s11
	s_mul_i32 s12, s26, s7
	v_mov_b32_e32 v1, 0
	v_cmp_gt_u32_e64 s[0:1], 64, v0
	v_cmp_gt_u32_e64 s[8:9], 16, v0
	v_mov_b32_e32 v5, 0
	s_lshl_b64 s[22:23], s[12:13], 4
	s_mov_b64 s[24:25], 0
	v_mov_b32_e32 v2, 0
	s_xor_b64 s[26:27], vcc, -1
                                        ; implicit-def: $vgpr9_vgpr10
	s_branch .LBB5_4
.LBB5_2:                                ;   in Loop: Header=BB5_4 Depth=1
	s_or_b64 exec, exec, s[16:17]
	v_mov_b32_e32 v1, v7
	v_mov_b32_e32 v3, v11
	;; [unrolled: 1-line block ×4, first 2 shown]
.LBB5_3:                                ;   in Loop: Header=BB5_4 Depth=1
	s_or_b64 exec, exec, s[14:15]
	s_add_u32 s24, s24, s7
	v_mov_b32_e32 v6, s20
	s_addc_u32 s25, s25, 0
	v_mov_b32_e32 v7, s21
	v_cmp_ge_i64_e32 vcc, s[24:25], v[6:7]
	v_mov_b32_e32 v8, s23
	v_add_co_u32_e64 v15, s[12:13], s22, v15
	v_addc_co_u32_e64 v16, s[12:13], v16, v8, s[12:13]
	s_cbranch_vccnz .LBB5_54
.LBB5_4:                                ; =>This Inner Loop Header: Depth=1
	v_mov_b32_e32 v7, s25
	v_add_co_u32_e32 v6, vcc, s24, v29
	v_addc_co_u32_e32 v7, vcc, 0, v7, vcc
	v_cmp_gt_i64_e32 vcc, s[20:21], v[6:7]
	v_mov_b32_e32 v11, 0
	v_mov_b32_e32 v12, 0
	s_and_saveexec_b64 s[12:13], vcc
	s_cbranch_execz .LBB5_6
; %bb.5:                                ;   in Loop: Header=BB5_4 Depth=1
	global_load_dwordx4 v[8:11], v[15:16], off offset:-8
	s_waitcnt vmcnt(0)
	v_cmp_gt_f64_e32 vcc, 0, v[8:9]
	v_xor_b32_e32 v12, 0x80000000, v9
	v_xor_b32_e32 v13, 0x80000000, v11
	v_cndmask_b32_e32 v9, v9, v12, vcc
	v_cmp_gt_f64_e32 vcc, 0, v[10:11]
	v_cndmask_b32_e32 v11, v11, v13, vcc
	v_add_f64 v[9:10], v[8:9], v[10:11]
	v_add_co_u32_e32 v11, vcc, 1, v6
	v_addc_co_u32_e32 v12, vcc, 0, v7, vcc
.LBB5_6:                                ;   in Loop: Header=BB5_4 Depth=1
	s_or_b64 exec, exec, s[12:13]
	s_and_saveexec_b64 s[12:13], s[0:1]
; %bb.7:                                ;   in Loop: Header=BB5_4 Depth=1
	v_mov_b32_e32 v6, v5
	v_mov_b32_e32 v7, v5
	;; [unrolled: 1-line block ×3, first 2 shown]
	ds_write_b128 v21, v[5:8]
; %bb.8:                                ;   in Loop: Header=BB5_4 Depth=1
	s_or_b64 exec, exec, s[12:13]
	ds_bpermute_b32 v6, v22, v11
	ds_bpermute_b32 v7, v22, v12
	;; [unrolled: 1-line block ×4, first 2 shown]
	v_mov_b32_e32 v14, v10
	v_mov_b32_e32 v13, v9
	s_waitcnt lgkmcnt(2)
	v_cmp_ne_u64_e32 vcc, 0, v[6:7]
	s_waitcnt lgkmcnt(0)
	s_barrier
	s_and_saveexec_b64 s[14:15], vcc
	s_cbranch_execz .LBB5_12
; %bb.9:                                ;   in Loop: Header=BB5_4 Depth=1
	v_cmp_nlt_f64_e32 vcc, v[9:10], v[17:18]
	v_cmp_ne_u64_e64 s[12:13], 0, v[11:12]
	v_mov_b32_e32 v13, v17
	v_mov_b32_e32 v14, v18
	s_and_b64 s[12:13], s[12:13], vcc
	s_and_saveexec_b64 s[16:17], s[12:13]
	s_cbranch_execz .LBB5_11
; %bb.10:                               ;   in Loop: Header=BB5_4 Depth=1
	v_cmp_eq_f64_e64 s[12:13], v[9:10], v[17:18]
	v_cmp_lt_i64_e32 vcc, v[6:7], v[11:12]
	v_mov_b32_e32 v14, v10
	v_cndmask_b32_e32 v7, v12, v7, vcc
	v_mov_b32_e32 v13, v9
	v_mov_b32_e32 v17, v9
	;; [unrolled: 1-line block ×3, first 2 shown]
	s_and_b64 vcc, s[12:13], vcc
	v_cndmask_b32_e64 v7, v12, v7, s[12:13]
	v_cndmask_b32_e32 v6, v11, v6, vcc
.LBB5_11:                               ;   in Loop: Header=BB5_4 Depth=1
	s_or_b64 exec, exec, s[16:17]
	v_mov_b32_e32 v12, v7
	v_mov_b32_e32 v10, v18
	;; [unrolled: 1-line block ×4, first 2 shown]
.LBB5_12:                               ;   in Loop: Header=BB5_4 Depth=1
	s_or_b64 exec, exec, s[14:15]
	ds_bpermute_b32 v6, v23, v11
	ds_bpermute_b32 v7, v23, v12
	;; [unrolled: 1-line block ×4, first 2 shown]
	s_waitcnt lgkmcnt(2)
	v_cmp_ne_u64_e32 vcc, 0, v[6:7]
	s_and_saveexec_b64 s[14:15], vcc
	s_cbranch_execz .LBB5_16
; %bb.13:                               ;   in Loop: Header=BB5_4 Depth=1
	s_waitcnt lgkmcnt(0)
	v_cmp_nlt_f64_e32 vcc, v[13:14], v[17:18]
	v_cmp_ne_u64_e64 s[12:13], 0, v[11:12]
	v_mov_b32_e32 v20, v18
	v_mov_b32_e32 v19, v17
	s_and_b64 s[12:13], s[12:13], vcc
	s_and_saveexec_b64 s[16:17], s[12:13]
	s_cbranch_execz .LBB5_15
; %bb.14:                               ;   in Loop: Header=BB5_4 Depth=1
	v_cmp_eq_f64_e64 s[12:13], v[13:14], v[17:18]
	v_cmp_lt_i64_e32 vcc, v[6:7], v[11:12]
	v_mov_b32_e32 v20, v14
	v_cndmask_b32_e32 v7, v12, v7, vcc
	v_mov_b32_e32 v19, v13
	v_mov_b32_e32 v17, v9
	v_mov_b32_e32 v18, v10
	s_and_b64 vcc, s[12:13], vcc
	v_cndmask_b32_e64 v7, v12, v7, s[12:13]
	v_cndmask_b32_e32 v6, v11, v6, vcc
.LBB5_15:                               ;   in Loop: Header=BB5_4 Depth=1
	s_or_b64 exec, exec, s[16:17]
	v_mov_b32_e32 v12, v7
	v_mov_b32_e32 v13, v19
	v_mov_b32_e32 v10, v18
	v_mov_b32_e32 v9, v17
	v_mov_b32_e32 v11, v6
	v_mov_b32_e32 v14, v20
.LBB5_16:                               ;   in Loop: Header=BB5_4 Depth=1
	s_or_b64 exec, exec, s[14:15]
	ds_bpermute_b32 v6, v24, v11
	ds_bpermute_b32 v7, v24, v12
	s_waitcnt lgkmcnt(3)
	ds_bpermute_b32 v17, v24, v9
	s_waitcnt lgkmcnt(3)
	ds_bpermute_b32 v18, v24, v10
	s_waitcnt lgkmcnt(2)
	v_cmp_ne_u64_e32 vcc, 0, v[6:7]
	s_and_saveexec_b64 s[14:15], vcc
	s_cbranch_execz .LBB5_20
; %bb.17:                               ;   in Loop: Header=BB5_4 Depth=1
	s_waitcnt lgkmcnt(0)
	v_cmp_nlt_f64_e32 vcc, v[13:14], v[17:18]
	v_cmp_ne_u64_e64 s[12:13], 0, v[11:12]
	v_mov_b32_e32 v20, v18
	v_mov_b32_e32 v19, v17
	s_and_b64 s[12:13], s[12:13], vcc
	s_and_saveexec_b64 s[16:17], s[12:13]
	s_cbranch_execz .LBB5_19
; %bb.18:                               ;   in Loop: Header=BB5_4 Depth=1
	v_cmp_eq_f64_e64 s[12:13], v[13:14], v[17:18]
	v_cmp_lt_i64_e32 vcc, v[6:7], v[11:12]
	v_mov_b32_e32 v20, v14
	v_cndmask_b32_e32 v7, v12, v7, vcc
	v_mov_b32_e32 v19, v13
	v_mov_b32_e32 v17, v9
	v_mov_b32_e32 v18, v10
	s_and_b64 vcc, s[12:13], vcc
	v_cndmask_b32_e64 v7, v12, v7, s[12:13]
	v_cndmask_b32_e32 v6, v11, v6, vcc
.LBB5_19:                               ;   in Loop: Header=BB5_4 Depth=1
	s_or_b64 exec, exec, s[16:17]
	v_mov_b32_e32 v12, v7
	v_mov_b32_e32 v13, v19
	v_mov_b32_e32 v10, v18
	v_mov_b32_e32 v9, v17
	v_mov_b32_e32 v11, v6
	v_mov_b32_e32 v14, v20
.LBB5_20:                               ;   in Loop: Header=BB5_4 Depth=1
	s_or_b64 exec, exec, s[14:15]
	ds_bpermute_b32 v6, v25, v11
	ds_bpermute_b32 v7, v25, v12
	s_waitcnt lgkmcnt(3)
	ds_bpermute_b32 v17, v25, v9
	s_waitcnt lgkmcnt(3)
	ds_bpermute_b32 v18, v25, v10
	;; [unrolled: 40-line block ×3, first 2 shown]
	s_waitcnt lgkmcnt(2)
	v_cmp_ne_u64_e32 vcc, 0, v[6:7]
	s_and_saveexec_b64 s[14:15], vcc
	s_cbranch_execz .LBB5_28
; %bb.25:                               ;   in Loop: Header=BB5_4 Depth=1
	s_waitcnt lgkmcnt(0)
	v_cmp_nlt_f64_e32 vcc, v[13:14], v[17:18]
	v_cmp_ne_u64_e64 s[12:13], 0, v[11:12]
	v_mov_b32_e32 v20, v18
	v_mov_b32_e32 v19, v17
	s_and_b64 s[12:13], s[12:13], vcc
	s_and_saveexec_b64 s[16:17], s[12:13]
	s_cbranch_execz .LBB5_27
; %bb.26:                               ;   in Loop: Header=BB5_4 Depth=1
	v_cmp_eq_f64_e64 s[12:13], v[13:14], v[17:18]
	v_cmp_lt_i64_e32 vcc, v[6:7], v[11:12]
	v_mov_b32_e32 v20, v14
	v_cndmask_b32_e32 v7, v12, v7, vcc
	v_mov_b32_e32 v19, v13
	v_mov_b32_e32 v17, v9
	;; [unrolled: 1-line block ×3, first 2 shown]
	s_and_b64 vcc, s[12:13], vcc
	v_cndmask_b32_e64 v7, v12, v7, s[12:13]
	v_cndmask_b32_e32 v6, v11, v6, vcc
.LBB5_27:                               ;   in Loop: Header=BB5_4 Depth=1
	s_or_b64 exec, exec, s[16:17]
	v_mov_b32_e32 v12, v7
	v_mov_b32_e32 v13, v19
	v_mov_b32_e32 v10, v18
	v_mov_b32_e32 v9, v17
	v_mov_b32_e32 v11, v6
	v_mov_b32_e32 v14, v20
.LBB5_28:                               ;   in Loop: Header=BB5_4 Depth=1
	s_or_b64 exec, exec, s[14:15]
	ds_bpermute_b32 v6, v27, v11
	ds_bpermute_b32 v7, v27, v12
	;; [unrolled: 1-line block ×4, first 2 shown]
	s_waitcnt lgkmcnt(2)
	v_cmp_ne_u64_e32 vcc, 0, v[6:7]
	s_and_saveexec_b64 s[28:29], vcc
	s_cbranch_execz .LBB5_30
; %bb.29:                               ;   in Loop: Header=BB5_4 Depth=1
	s_waitcnt lgkmcnt(0)
	v_mov_b32_e32 v9, v10
	v_cmp_eq_f64_e32 vcc, v[13:14], v[8:9]
	v_cmp_lt_f64_e64 s[12:13], v[13:14], v[8:9]
	v_cmp_lt_i64_e64 s[14:15], v[6:7], v[11:12]
	v_cmp_eq_u64_e64 s[16:17], 0, v[11:12]
	s_and_b64 s[14:15], vcc, s[14:15]
	s_or_b64 vcc, s[16:17], s[12:13]
	s_or_b64 s[12:13], vcc, s[14:15]
	v_cndmask_b32_e32 v14, v14, v10, vcc
	v_cndmask_b32_e64 v12, v12, v7, s[12:13]
	v_cndmask_b32_e64 v11, v11, v6, s[12:13]
	v_cndmask_b32_e32 v13, v13, v8, vcc
.LBB5_30:                               ;   in Loop: Header=BB5_4 Depth=1
	s_or_b64 exec, exec, s[28:29]
	s_and_saveexec_b64 s[12:13], s[2:3]
; %bb.31:                               ;   in Loop: Header=BB5_4 Depth=1
	ds_write_b128 v28, v[11:14]
; %bb.32:                               ;   in Loop: Header=BB5_4 Depth=1
	s_or_b64 exec, exec, s[12:13]
	s_waitcnt lgkmcnt(0)
	v_mov_b32_e32 v9, 0
	v_mov_b32_e32 v7, 0
	;; [unrolled: 1-line block ×4, first 2 shown]
	s_barrier
	s_and_saveexec_b64 s[12:13], s[8:9]
; %bb.33:                               ;   in Loop: Header=BB5_4 Depth=1
	ds_read_b128 v[7:10], v21
; %bb.34:                               ;   in Loop: Header=BB5_4 Depth=1
	s_or_b64 exec, exec, s[12:13]
	s_and_saveexec_b64 s[28:29], s[0:1]
	s_cbranch_execz .LBB5_50
; %bb.35:                               ;   in Loop: Header=BB5_4 Depth=1
	s_waitcnt lgkmcnt(0)
	ds_bpermute_b32 v13, v24, v7
	ds_bpermute_b32 v14, v24, v8
	;; [unrolled: 1-line block ×4, first 2 shown]
	v_mov_b32_e32 v12, v10
	v_mov_b32_e32 v11, v9
	s_waitcnt lgkmcnt(2)
	v_cmp_ne_u64_e32 vcc, 0, v[13:14]
	s_and_saveexec_b64 s[14:15], vcc
	s_cbranch_execz .LBB5_39
; %bb.36:                               ;   in Loop: Header=BB5_4 Depth=1
	s_waitcnt lgkmcnt(0)
	v_cmp_nlt_f64_e32 vcc, v[9:10], v[17:18]
	v_cmp_ne_u64_e64 s[12:13], 0, v[7:8]
	v_mov_b32_e32 v11, v17
	v_mov_b32_e32 v12, v18
	s_and_b64 s[12:13], s[12:13], vcc
	s_and_saveexec_b64 s[16:17], s[12:13]
	s_cbranch_execz .LBB5_38
; %bb.37:                               ;   in Loop: Header=BB5_4 Depth=1
	v_cmp_eq_f64_e64 s[12:13], v[9:10], v[17:18]
	v_cmp_lt_i64_e32 vcc, v[13:14], v[7:8]
	v_mov_b32_e32 v12, v10
	v_cndmask_b32_e32 v6, v8, v14, vcc
	v_mov_b32_e32 v11, v9
	v_mov_b32_e32 v17, v9
	;; [unrolled: 1-line block ×3, first 2 shown]
	s_and_b64 vcc, s[12:13], vcc
	v_cndmask_b32_e64 v14, v8, v6, s[12:13]
	v_cndmask_b32_e32 v13, v7, v13, vcc
.LBB5_38:                               ;   in Loop: Header=BB5_4 Depth=1
	s_or_b64 exec, exec, s[16:17]
	v_mov_b32_e32 v7, v13
	v_mov_b32_e32 v10, v18
	;; [unrolled: 1-line block ×4, first 2 shown]
.LBB5_39:                               ;   in Loop: Header=BB5_4 Depth=1
	s_or_b64 exec, exec, s[14:15]
	ds_bpermute_b32 v13, v25, v7
	ds_bpermute_b32 v14, v25, v8
	s_waitcnt lgkmcnt(3)
	ds_bpermute_b32 v17, v25, v9
	s_waitcnt lgkmcnt(3)
	;; [unrolled: 2-line block ×3, first 2 shown]
	v_cmp_ne_u64_e32 vcc, 0, v[13:14]
	s_and_saveexec_b64 s[14:15], vcc
	s_cbranch_execz .LBB5_43
; %bb.40:                               ;   in Loop: Header=BB5_4 Depth=1
	s_waitcnt lgkmcnt(0)
	v_cmp_nlt_f64_e32 vcc, v[11:12], v[17:18]
	v_cmp_ne_u64_e64 s[12:13], 0, v[7:8]
	v_mov_b32_e32 v20, v18
	v_mov_b32_e32 v19, v17
	s_and_b64 s[12:13], s[12:13], vcc
	s_and_saveexec_b64 s[16:17], s[12:13]
	s_cbranch_execz .LBB5_42
; %bb.41:                               ;   in Loop: Header=BB5_4 Depth=1
	v_cmp_eq_f64_e64 s[12:13], v[11:12], v[17:18]
	v_cmp_lt_i64_e32 vcc, v[13:14], v[7:8]
	v_mov_b32_e32 v20, v12
	v_cndmask_b32_e32 v6, v8, v14, vcc
	v_mov_b32_e32 v19, v11
	v_mov_b32_e32 v17, v9
	;; [unrolled: 1-line block ×3, first 2 shown]
	s_and_b64 vcc, s[12:13], vcc
	v_cndmask_b32_e64 v14, v8, v6, s[12:13]
	v_cndmask_b32_e32 v13, v7, v13, vcc
.LBB5_42:                               ;   in Loop: Header=BB5_4 Depth=1
	s_or_b64 exec, exec, s[16:17]
	v_mov_b32_e32 v7, v13
	v_mov_b32_e32 v11, v19
	;; [unrolled: 1-line block ×6, first 2 shown]
.LBB5_43:                               ;   in Loop: Header=BB5_4 Depth=1
	s_or_b64 exec, exec, s[14:15]
	ds_bpermute_b32 v13, v26, v7
	ds_bpermute_b32 v14, v26, v8
	s_waitcnt lgkmcnt(3)
	ds_bpermute_b32 v17, v26, v9
	s_waitcnt lgkmcnt(3)
	;; [unrolled: 2-line block ×3, first 2 shown]
	v_cmp_ne_u64_e32 vcc, 0, v[13:14]
	s_and_saveexec_b64 s[14:15], vcc
	s_cbranch_execz .LBB5_47
; %bb.44:                               ;   in Loop: Header=BB5_4 Depth=1
	s_waitcnt lgkmcnt(0)
	v_cmp_nlt_f64_e32 vcc, v[11:12], v[17:18]
	v_cmp_ne_u64_e64 s[12:13], 0, v[7:8]
	v_mov_b32_e32 v20, v18
	v_mov_b32_e32 v19, v17
	s_and_b64 s[12:13], s[12:13], vcc
	s_and_saveexec_b64 s[16:17], s[12:13]
	s_cbranch_execz .LBB5_46
; %bb.45:                               ;   in Loop: Header=BB5_4 Depth=1
	v_cmp_eq_f64_e64 s[12:13], v[11:12], v[17:18]
	v_cmp_lt_i64_e32 vcc, v[13:14], v[7:8]
	v_mov_b32_e32 v20, v12
	v_cndmask_b32_e32 v6, v8, v14, vcc
	v_mov_b32_e32 v19, v11
	v_mov_b32_e32 v17, v9
	;; [unrolled: 1-line block ×3, first 2 shown]
	s_and_b64 vcc, s[12:13], vcc
	v_cndmask_b32_e64 v14, v8, v6, s[12:13]
	v_cndmask_b32_e32 v13, v7, v13, vcc
.LBB5_46:                               ;   in Loop: Header=BB5_4 Depth=1
	s_or_b64 exec, exec, s[16:17]
	v_mov_b32_e32 v7, v13
	v_mov_b32_e32 v11, v19
	;; [unrolled: 1-line block ×6, first 2 shown]
.LBB5_47:                               ;   in Loop: Header=BB5_4 Depth=1
	s_or_b64 exec, exec, s[14:15]
	ds_bpermute_b32 v13, v27, v7
	ds_bpermute_b32 v14, v27, v8
	;; [unrolled: 1-line block ×4, first 2 shown]
	s_waitcnt lgkmcnt(2)
	v_cmp_ne_u64_e32 vcc, 0, v[13:14]
	s_and_saveexec_b64 s[30:31], vcc
	s_cbranch_execz .LBB5_49
; %bb.48:                               ;   in Loop: Header=BB5_4 Depth=1
	s_waitcnt lgkmcnt(0)
	v_mov_b32_e32 v10, v6
	v_cmp_eq_f64_e32 vcc, v[11:12], v[9:10]
	v_cmp_lt_f64_e64 s[12:13], v[11:12], v[9:10]
	v_cmp_lt_i64_e64 s[14:15], v[13:14], v[7:8]
	v_cmp_eq_u64_e64 s[16:17], 0, v[7:8]
	s_and_b64 s[14:15], vcc, s[14:15]
	s_or_b64 vcc, s[16:17], s[12:13]
	s_or_b64 s[12:13], vcc, s[14:15]
	v_cndmask_b32_e32 v12, v12, v6, vcc
	v_cndmask_b32_e64 v8, v8, v14, s[12:13]
	v_cndmask_b32_e64 v7, v7, v13, s[12:13]
	v_cndmask_b32_e32 v11, v11, v9, vcc
.LBB5_49:                               ;   in Loop: Header=BB5_4 Depth=1
	s_or_b64 exec, exec, s[30:31]
	s_waitcnt lgkmcnt(1)
	v_mov_b32_e32 v9, v11
	v_mov_b32_e32 v10, v12
.LBB5_50:                               ;   in Loop: Header=BB5_4 Depth=1
	s_or_b64 exec, exec, s[28:29]
	s_waitcnt lgkmcnt(0)
	v_cmp_ne_u64_e32 vcc, 0, v[7:8]
	s_and_b64 s[12:13], s[26:27], vcc
	s_and_saveexec_b64 s[14:15], s[12:13]
	s_cbranch_execz .LBB5_3
; %bb.51:                               ;   in Loop: Header=BB5_4 Depth=1
	v_cmp_ngt_f64_e32 vcc, v[9:10], v[3:4]
	v_cmp_ne_u64_e64 s[12:13], 0, v[1:2]
	v_mov_b32_e32 v12, v10
	v_mov_b32_e32 v11, v9
	s_and_b64 s[12:13], s[12:13], vcc
	s_and_saveexec_b64 s[16:17], s[12:13]
	s_cbranch_execz .LBB5_2
; %bb.52:                               ;   in Loop: Header=BB5_4 Depth=1
	v_cmp_eq_f64_e64 s[12:13], v[3:4], v[9:10]
	v_cmp_lt_i64_e32 vcc, v[7:8], v[1:2]
	v_mov_b32_e32 v12, v4
	v_cndmask_b32_e32 v6, v2, v8, vcc
	v_mov_b32_e32 v11, v3
	s_and_b64 vcc, s[12:13], vcc
	v_cndmask_b32_e64 v8, v2, v6, s[12:13]
	v_cndmask_b32_e32 v7, v1, v7, vcc
	s_branch .LBB5_2
.LBB5_53:
	v_mov_b32_e32 v1, 0
	v_mov_b32_e32 v2, 0
.LBB5_54:
	s_mov_b32 s7, 0
	v_cmp_eq_u32_e32 vcc, 0, v0
	s_and_saveexec_b64 s[0:1], vcc
	s_cbranch_execz .LBB5_56
; %bb.55:
	s_load_dword s0, s[4:5], 0x30
	v_mov_b32_e32 v0, 0
	s_waitcnt lgkmcnt(0)
	s_mul_hi_u32 s1, s0, s10
	s_mul_i32 s0, s0, s10
	s_lshl_b64 s[0:1], s[0:1], 4
	s_add_u32 s2, s18, s0
	s_addc_u32 s3, s19, s1
	s_lshl_b64 s[0:1], s[6:7], 4
	s_add_u32 s0, s2, s0
	s_addc_u32 s1, s3, s1
	global_store_dwordx4 v0, v[1:4], s[0:1]
.LBB5_56:
	s_endpgm
	.section	.rodata,"a",@progbits
	.p2align	6, 0x0
	.amdhsa_kernel _ZL35rocblas_iamax_iamin_kernel_part1_64ILi1024E26rocblas_fetch_amax_amin_64IdE22rocblas_reduce_amax_64PK19rocblas_complex_numIdE24rocblas_index_64_value_tIdEEvlT2_lllPT3_
		.amdhsa_group_segment_fixed_size 1024
		.amdhsa_private_segment_fixed_size 0
		.amdhsa_kernarg_size 304
		.amdhsa_user_sgpr_count 6
		.amdhsa_user_sgpr_private_segment_buffer 1
		.amdhsa_user_sgpr_dispatch_ptr 0
		.amdhsa_user_sgpr_queue_ptr 0
		.amdhsa_user_sgpr_kernarg_segment_ptr 1
		.amdhsa_user_sgpr_dispatch_id 0
		.amdhsa_user_sgpr_flat_scratch_init 0
		.amdhsa_user_sgpr_private_segment_size 0
		.amdhsa_uses_dynamic_stack 0
		.amdhsa_system_sgpr_private_segment_wavefront_offset 0
		.amdhsa_system_sgpr_workgroup_id_x 1
		.amdhsa_system_sgpr_workgroup_id_y 0
		.amdhsa_system_sgpr_workgroup_id_z 1
		.amdhsa_system_sgpr_workgroup_info 0
		.amdhsa_system_vgpr_workitem_id 0
		.amdhsa_next_free_vgpr 30
		.amdhsa_next_free_sgpr 32
		.amdhsa_reserve_vcc 1
		.amdhsa_reserve_flat_scratch 0
		.amdhsa_float_round_mode_32 0
		.amdhsa_float_round_mode_16_64 0
		.amdhsa_float_denorm_mode_32 3
		.amdhsa_float_denorm_mode_16_64 3
		.amdhsa_dx10_clamp 1
		.amdhsa_ieee_mode 1
		.amdhsa_fp16_overflow 0
		.amdhsa_exception_fp_ieee_invalid_op 0
		.amdhsa_exception_fp_denorm_src 0
		.amdhsa_exception_fp_ieee_div_zero 0
		.amdhsa_exception_fp_ieee_overflow 0
		.amdhsa_exception_fp_ieee_underflow 0
		.amdhsa_exception_fp_ieee_inexact 0
		.amdhsa_exception_int_div_zero 0
	.end_amdhsa_kernel
	.section	.text._ZL35rocblas_iamax_iamin_kernel_part1_64ILi1024E26rocblas_fetch_amax_amin_64IdE22rocblas_reduce_amax_64PK19rocblas_complex_numIdE24rocblas_index_64_value_tIdEEvlT2_lllPT3_,"axG",@progbits,_ZL35rocblas_iamax_iamin_kernel_part1_64ILi1024E26rocblas_fetch_amax_amin_64IdE22rocblas_reduce_amax_64PK19rocblas_complex_numIdE24rocblas_index_64_value_tIdEEvlT2_lllPT3_,comdat
.Lfunc_end5:
	.size	_ZL35rocblas_iamax_iamin_kernel_part1_64ILi1024E26rocblas_fetch_amax_amin_64IdE22rocblas_reduce_amax_64PK19rocblas_complex_numIdE24rocblas_index_64_value_tIdEEvlT2_lllPT3_, .Lfunc_end5-_ZL35rocblas_iamax_iamin_kernel_part1_64ILi1024E26rocblas_fetch_amax_amin_64IdE22rocblas_reduce_amax_64PK19rocblas_complex_numIdE24rocblas_index_64_value_tIdEEvlT2_lllPT3_
                                        ; -- End function
	.set _ZL35rocblas_iamax_iamin_kernel_part1_64ILi1024E26rocblas_fetch_amax_amin_64IdE22rocblas_reduce_amax_64PK19rocblas_complex_numIdE24rocblas_index_64_value_tIdEEvlT2_lllPT3_.num_vgpr, 30
	.set _ZL35rocblas_iamax_iamin_kernel_part1_64ILi1024E26rocblas_fetch_amax_amin_64IdE22rocblas_reduce_amax_64PK19rocblas_complex_numIdE24rocblas_index_64_value_tIdEEvlT2_lllPT3_.num_agpr, 0
	.set _ZL35rocblas_iamax_iamin_kernel_part1_64ILi1024E26rocblas_fetch_amax_amin_64IdE22rocblas_reduce_amax_64PK19rocblas_complex_numIdE24rocblas_index_64_value_tIdEEvlT2_lllPT3_.numbered_sgpr, 32
	.set _ZL35rocblas_iamax_iamin_kernel_part1_64ILi1024E26rocblas_fetch_amax_amin_64IdE22rocblas_reduce_amax_64PK19rocblas_complex_numIdE24rocblas_index_64_value_tIdEEvlT2_lllPT3_.num_named_barrier, 0
	.set _ZL35rocblas_iamax_iamin_kernel_part1_64ILi1024E26rocblas_fetch_amax_amin_64IdE22rocblas_reduce_amax_64PK19rocblas_complex_numIdE24rocblas_index_64_value_tIdEEvlT2_lllPT3_.private_seg_size, 0
	.set _ZL35rocblas_iamax_iamin_kernel_part1_64ILi1024E26rocblas_fetch_amax_amin_64IdE22rocblas_reduce_amax_64PK19rocblas_complex_numIdE24rocblas_index_64_value_tIdEEvlT2_lllPT3_.uses_vcc, 1
	.set _ZL35rocblas_iamax_iamin_kernel_part1_64ILi1024E26rocblas_fetch_amax_amin_64IdE22rocblas_reduce_amax_64PK19rocblas_complex_numIdE24rocblas_index_64_value_tIdEEvlT2_lllPT3_.uses_flat_scratch, 0
	.set _ZL35rocblas_iamax_iamin_kernel_part1_64ILi1024E26rocblas_fetch_amax_amin_64IdE22rocblas_reduce_amax_64PK19rocblas_complex_numIdE24rocblas_index_64_value_tIdEEvlT2_lllPT3_.has_dyn_sized_stack, 0
	.set _ZL35rocblas_iamax_iamin_kernel_part1_64ILi1024E26rocblas_fetch_amax_amin_64IdE22rocblas_reduce_amax_64PK19rocblas_complex_numIdE24rocblas_index_64_value_tIdEEvlT2_lllPT3_.has_recursion, 0
	.set _ZL35rocblas_iamax_iamin_kernel_part1_64ILi1024E26rocblas_fetch_amax_amin_64IdE22rocblas_reduce_amax_64PK19rocblas_complex_numIdE24rocblas_index_64_value_tIdEEvlT2_lllPT3_.has_indirect_call, 0
	.section	.AMDGPU.csdata,"",@progbits
; Kernel info:
; codeLenInByte = 2444
; TotalNumSgprs: 36
; NumVgprs: 30
; ScratchSize: 0
; MemoryBound: 0
; FloatMode: 240
; IeeeMode: 1
; LDSByteSize: 1024 bytes/workgroup (compile time only)
; SGPRBlocks: 4
; VGPRBlocks: 7
; NumSGPRsForWavesPerEU: 36
; NumVGPRsForWavesPerEU: 30
; Occupancy: 8
; WaveLimiterHint : 0
; COMPUTE_PGM_RSRC2:SCRATCH_EN: 0
; COMPUTE_PGM_RSRC2:USER_SGPR: 6
; COMPUTE_PGM_RSRC2:TRAP_HANDLER: 0
; COMPUTE_PGM_RSRC2:TGID_X_EN: 1
; COMPUTE_PGM_RSRC2:TGID_Y_EN: 0
; COMPUTE_PGM_RSRC2:TGID_Z_EN: 1
; COMPUTE_PGM_RSRC2:TIDIG_COMP_CNT: 0
	.section	.text._ZL35rocblas_iamax_iamin_kernel_part1_64ILi1024E26rocblas_fetch_amax_amin_64IfE22rocblas_reduce_amax_64PKPKf24rocblas_index_64_value_tIfEEvlT2_lllPT3_,"axG",@progbits,_ZL35rocblas_iamax_iamin_kernel_part1_64ILi1024E26rocblas_fetch_amax_amin_64IfE22rocblas_reduce_amax_64PKPKf24rocblas_index_64_value_tIfEEvlT2_lllPT3_,comdat
	.globl	_ZL35rocblas_iamax_iamin_kernel_part1_64ILi1024E26rocblas_fetch_amax_amin_64IfE22rocblas_reduce_amax_64PKPKf24rocblas_index_64_value_tIfEEvlT2_lllPT3_ ; -- Begin function _ZL35rocblas_iamax_iamin_kernel_part1_64ILi1024E26rocblas_fetch_amax_amin_64IfE22rocblas_reduce_amax_64PKPKf24rocblas_index_64_value_tIfEEvlT2_lllPT3_
	.p2align	8
	.type	_ZL35rocblas_iamax_iamin_kernel_part1_64ILi1024E26rocblas_fetch_amax_amin_64IfE22rocblas_reduce_amax_64PKPKf24rocblas_index_64_value_tIfEEvlT2_lllPT3_,@function
_ZL35rocblas_iamax_iamin_kernel_part1_64ILi1024E26rocblas_fetch_amax_amin_64IfE22rocblas_reduce_amax_64PKPKf24rocblas_index_64_value_tIfEEvlT2_lllPT3_: ; @_ZL35rocblas_iamax_iamin_kernel_part1_64ILi1024E26rocblas_fetch_amax_amin_64IfE22rocblas_reduce_amax_64PKPKf24rocblas_index_64_value_tIfEEvlT2_lllPT3_
; %bb.0:
	s_load_dwordx8 s[16:23], s[4:5], 0x0
	s_mov_b32 s24, s7
	s_mov_b32 s25, 0
	s_waitcnt lgkmcnt(0)
	v_cmp_lt_i64_e64 s[0:1], s[16:17], 1
	s_and_b64 vcc, exec, s[0:1]
	s_cbranch_vccnz .LBB6_53
; %bb.1:
	v_mbcnt_lo_u32_b32 v2, -1, 0
	v_mbcnt_hi_u32_b32 v2, -1, v2
	v_and_b32_e32 v3, 63, v2
	v_mov_b32_e32 v4, 0x80
	v_cmp_gt_u32_e32 vcc, 48, v3
	v_lshl_or_b32 v13, v2, 2, v4
	v_cndmask_b32_e64 v4, 0, 16, vcc
	v_cmp_gt_u32_e32 vcc, 56, v3
	v_add_lshl_u32 v14, v4, v2, 2
	v_cndmask_b32_e64 v4, 0, 8, vcc
	v_cmp_gt_u32_e32 vcc, 60, v3
	v_add_lshl_u32 v15, v4, v2, 2
	;; [unrolled: 3-line block ×3, first 2 shown]
	v_cndmask_b32_e64 v4, 0, 2, vcc
	v_cmp_ne_u32_e32 vcc, 63, v3
	v_and_b32_e32 v1, 63, v0
	v_add_lshl_u32 v17, v4, v2, 2
	v_addc_co_u32_e32 v2, vcc, 0, v2, vcc
	v_lshl_or_b32 v19, s6, 10, v0
	s_lshl_b64 s[0:1], s[24:25], 3
	v_lshlrev_b32_e32 v12, 4, v1
	v_lshlrev_b32_e32 v18, 2, v2
	v_cmp_eq_u32_e64 s[2:3], 0, v1
	v_mad_u64_u32 v[1:2], s[8:9], s22, v19, 0
	s_add_u32 s0, s18, s0
	s_addc_u32 s1, s19, s1
	s_load_dword s7, s[4:5], 0x30
	s_load_dwordx2 s[10:11], s[0:1], 0x0
	v_lshrrev_b32_e32 v3, 2, v0
	v_and_b32_e32 v20, 0xf0, v3
	v_mad_u64_u32 v[2:3], s[12:13], s23, v19, v[2:3]
	s_waitcnt lgkmcnt(0)
	s_lshl_b32 s7, s7, 10
	s_lshl_b64 s[12:13], s[20:21], 2
	v_lshlrev_b64 v[1:2], 2, v[1:2]
	s_add_u32 s10, s10, s12
	s_addc_u32 s11, s11, s13
	v_mov_b32_e32 v3, s11
	v_add_co_u32_e64 v6, s[10:11], s10, v1
	v_addc_co_u32_e64 v7, s[10:11], v3, v2, s[10:11]
	s_mul_i32 s10, s23, s7
	s_mul_hi_u32 s11, s22, s7
	v_cmp_ne_u32_e32 vcc, 0, v0
	s_add_i32 s11, s11, s10
	s_mul_i32 s10, s22, s7
	v_mov_b32_e32 v1, 0
	v_cmp_gt_u32_e64 s[0:1], 64, v0
	v_cmp_gt_u32_e64 s[8:9], 16, v0
	v_mov_b32_e32 v4, 0
	s_lshl_b64 s[18:19], s[10:11], 2
	s_mov_b64 s[20:21], 0
	v_mov_b32_e32 v2, 0
	s_xor_b64 s[22:23], vcc, -1
                                        ; implicit-def: $vgpr21
	s_branch .LBB6_4
.LBB6_2:                                ;   in Loop: Header=BB6_4 Depth=1
	s_or_b64 exec, exec, s[14:15]
	v_mov_b32_e32 v1, v8
	v_mov_b32_e32 v2, v9
	;; [unrolled: 1-line block ×3, first 2 shown]
.LBB6_3:                                ;   in Loop: Header=BB6_4 Depth=1
	s_or_b64 exec, exec, s[12:13]
	s_add_u32 s20, s20, s7
	v_mov_b32_e32 v8, s16
	s_addc_u32 s21, s21, 0
	v_mov_b32_e32 v9, s17
	v_cmp_ge_i64_e32 vcc, s[20:21], v[8:9]
	v_mov_b32_e32 v5, s19
	v_add_co_u32_e64 v6, s[10:11], s18, v6
	v_addc_co_u32_e64 v7, s[10:11], v7, v5, s[10:11]
	s_cbranch_vccnz .LBB6_54
.LBB6_4:                                ; =>This Inner Loop Header: Depth=1
	v_mov_b32_e32 v5, s21
	v_add_co_u32_e32 v10, vcc, s20, v19
	v_addc_co_u32_e32 v11, vcc, 0, v5, vcc
	v_cmp_gt_i64_e32 vcc, s[16:17], v[10:11]
	v_mov_b32_e32 v8, 0
	v_mov_b32_e32 v9, 0
	s_and_saveexec_b64 s[10:11], vcc
	s_cbranch_execz .LBB6_6
; %bb.5:                                ;   in Loop: Header=BB6_4 Depth=1
	flat_load_dword v5, v[6:7]
	v_add_co_u32_e32 v8, vcc, 1, v10
	v_addc_co_u32_e32 v9, vcc, 0, v11, vcc
	s_waitcnt vmcnt(0) lgkmcnt(0)
	v_cmp_gt_f32_e32 vcc, 0, v5
	v_cndmask_b32_e64 v21, v5, -v5, vcc
.LBB6_6:                                ;   in Loop: Header=BB6_4 Depth=1
	s_or_b64 exec, exec, s[10:11]
	s_and_saveexec_b64 s[10:11], s[0:1]
	s_cbranch_execz .LBB6_8
; %bb.7:                                ;   in Loop: Header=BB6_4 Depth=1
	v_mov_b32_e32 v5, v4
	ds_write_b64 v12, v[4:5]
	ds_write_b32 v12, v4 offset:8
.LBB6_8:                                ;   in Loop: Header=BB6_4 Depth=1
	s_or_b64 exec, exec, s[10:11]
	ds_bpermute_b32 v10, v13, v8
	ds_bpermute_b32 v11, v13, v9
	s_waitcnt lgkmcnt(2)
	ds_bpermute_b32 v22, v13, v21
	v_mov_b32_e32 v5, v21
	s_waitcnt lgkmcnt(0)
	s_barrier
	v_cmp_ne_u64_e32 vcc, 0, v[10:11]
	s_and_saveexec_b64 s[12:13], vcc
	s_cbranch_execz .LBB6_12
; %bb.9:                                ;   in Loop: Header=BB6_4 Depth=1
	v_cmp_ne_u64_e32 vcc, 0, v[8:9]
	v_cmp_nlt_f32_e64 s[10:11], v21, v22
	s_and_b64 s[10:11], vcc, s[10:11]
	s_and_saveexec_b64 s[14:15], s[10:11]
; %bb.10:                               ;   in Loop: Header=BB6_4 Depth=1
	v_cmp_lt_i64_e32 vcc, v[10:11], v[8:9]
	v_cmp_eq_f32_e64 s[10:11], v21, v22
	v_cndmask_b32_e32 v5, v9, v11, vcc
	s_and_b64 vcc, s[10:11], vcc
	v_cndmask_b32_e64 v11, v9, v5, s[10:11]
	v_cndmask_b32_e32 v10, v8, v10, vcc
	v_mov_b32_e32 v22, v21
; %bb.11:                               ;   in Loop: Header=BB6_4 Depth=1
	s_or_b64 exec, exec, s[14:15]
	v_mov_b32_e32 v8, v10
	v_mov_b32_e32 v21, v22
	;; [unrolled: 1-line block ×4, first 2 shown]
.LBB6_12:                               ;   in Loop: Header=BB6_4 Depth=1
	s_or_b64 exec, exec, s[12:13]
	ds_bpermute_b32 v10, v14, v8
	ds_bpermute_b32 v11, v14, v9
	;; [unrolled: 1-line block ×3, first 2 shown]
	s_waitcnt lgkmcnt(1)
	v_cmp_ne_u64_e32 vcc, 0, v[10:11]
	s_and_saveexec_b64 s[12:13], vcc
	s_cbranch_execz .LBB6_16
; %bb.13:                               ;   in Loop: Header=BB6_4 Depth=1
	v_cmp_ne_u64_e32 vcc, 0, v[8:9]
	s_waitcnt lgkmcnt(0)
	v_cmp_nlt_f32_e64 s[10:11], v5, v22
	s_and_b64 s[10:11], vcc, s[10:11]
	v_mov_b32_e32 v23, v22
	s_and_saveexec_b64 s[14:15], s[10:11]
; %bb.14:                               ;   in Loop: Header=BB6_4 Depth=1
	v_cmp_lt_i64_e32 vcc, v[10:11], v[8:9]
	v_cmp_eq_f32_e64 s[10:11], v5, v22
	v_cndmask_b32_e32 v11, v9, v11, vcc
	s_and_b64 vcc, s[10:11], vcc
	v_cndmask_b32_e64 v11, v9, v11, s[10:11]
	v_cndmask_b32_e32 v10, v8, v10, vcc
	v_mov_b32_e32 v23, v5
	v_mov_b32_e32 v22, v21
; %bb.15:                               ;   in Loop: Header=BB6_4 Depth=1
	s_or_b64 exec, exec, s[14:15]
	v_mov_b32_e32 v8, v10
	v_mov_b32_e32 v21, v22
	v_mov_b32_e32 v9, v11
	v_mov_b32_e32 v5, v23
.LBB6_16:                               ;   in Loop: Header=BB6_4 Depth=1
	s_or_b64 exec, exec, s[12:13]
	ds_bpermute_b32 v10, v15, v8
	ds_bpermute_b32 v11, v15, v9
	s_waitcnt lgkmcnt(2)
	ds_bpermute_b32 v22, v15, v21
	s_waitcnt lgkmcnt(1)
	v_cmp_ne_u64_e32 vcc, 0, v[10:11]
	s_and_saveexec_b64 s[12:13], vcc
	s_cbranch_execz .LBB6_20
; %bb.17:                               ;   in Loop: Header=BB6_4 Depth=1
	v_cmp_ne_u64_e32 vcc, 0, v[8:9]
	s_waitcnt lgkmcnt(0)
	v_cmp_nlt_f32_e64 s[10:11], v5, v22
	s_and_b64 s[10:11], vcc, s[10:11]
	v_mov_b32_e32 v23, v22
	s_and_saveexec_b64 s[14:15], s[10:11]
; %bb.18:                               ;   in Loop: Header=BB6_4 Depth=1
	v_cmp_lt_i64_e32 vcc, v[10:11], v[8:9]
	v_cmp_eq_f32_e64 s[10:11], v5, v22
	v_cndmask_b32_e32 v11, v9, v11, vcc
	s_and_b64 vcc, s[10:11], vcc
	v_cndmask_b32_e64 v11, v9, v11, s[10:11]
	v_cndmask_b32_e32 v10, v8, v10, vcc
	v_mov_b32_e32 v23, v5
	v_mov_b32_e32 v22, v21
; %bb.19:                               ;   in Loop: Header=BB6_4 Depth=1
	s_or_b64 exec, exec, s[14:15]
	v_mov_b32_e32 v8, v10
	v_mov_b32_e32 v21, v22
	v_mov_b32_e32 v9, v11
	v_mov_b32_e32 v5, v23
.LBB6_20:                               ;   in Loop: Header=BB6_4 Depth=1
	s_or_b64 exec, exec, s[12:13]
	ds_bpermute_b32 v10, v16, v8
	ds_bpermute_b32 v11, v16, v9
	s_waitcnt lgkmcnt(2)
	ds_bpermute_b32 v22, v16, v21
	;; [unrolled: 32-line block ×3, first 2 shown]
	s_waitcnt lgkmcnt(1)
	v_cmp_ne_u64_e32 vcc, 0, v[10:11]
	s_and_saveexec_b64 s[12:13], vcc
	s_cbranch_execz .LBB6_28
; %bb.25:                               ;   in Loop: Header=BB6_4 Depth=1
	v_cmp_ne_u64_e32 vcc, 0, v[8:9]
	s_waitcnt lgkmcnt(0)
	v_cmp_nlt_f32_e64 s[10:11], v5, v22
	s_and_b64 s[10:11], vcc, s[10:11]
	v_mov_b32_e32 v23, v22
	s_and_saveexec_b64 s[14:15], s[10:11]
; %bb.26:                               ;   in Loop: Header=BB6_4 Depth=1
	v_cmp_lt_i64_e32 vcc, v[10:11], v[8:9]
	v_cmp_eq_f32_e64 s[10:11], v5, v22
	v_cndmask_b32_e32 v11, v9, v11, vcc
	s_and_b64 vcc, s[10:11], vcc
	v_cndmask_b32_e64 v11, v9, v11, s[10:11]
	v_cndmask_b32_e32 v10, v8, v10, vcc
	v_mov_b32_e32 v23, v5
	v_mov_b32_e32 v22, v21
; %bb.27:                               ;   in Loop: Header=BB6_4 Depth=1
	s_or_b64 exec, exec, s[14:15]
	v_mov_b32_e32 v8, v10
	v_mov_b32_e32 v21, v22
	;; [unrolled: 1-line block ×4, first 2 shown]
.LBB6_28:                               ;   in Loop: Header=BB6_4 Depth=1
	s_or_b64 exec, exec, s[12:13]
	ds_bpermute_b32 v10, v18, v8
	ds_bpermute_b32 v11, v18, v9
	;; [unrolled: 1-line block ×3, first 2 shown]
	s_waitcnt lgkmcnt(1)
	v_cmp_ne_u64_e32 vcc, 0, v[10:11]
	s_and_saveexec_b64 s[26:27], vcc
	s_cbranch_execz .LBB6_30
; %bb.29:                               ;   in Loop: Header=BB6_4 Depth=1
	v_cmp_eq_u64_e32 vcc, 0, v[8:9]
	v_cmp_lt_i64_e64 s[12:13], v[10:11], v[8:9]
	s_waitcnt lgkmcnt(0)
	v_cmp_lt_f32_e64 s[10:11], v5, v21
	v_cmp_eq_f32_e64 s[14:15], v5, v21
	s_and_b64 s[12:13], s[14:15], s[12:13]
	s_or_b64 vcc, vcc, s[10:11]
	v_cndmask_b32_e64 v9, v9, v11, s[12:13]
	s_or_b64 s[10:11], vcc, s[12:13]
	v_cndmask_b32_e32 v9, v9, v11, vcc
	v_cndmask_b32_e64 v8, v8, v10, s[10:11]
	v_cndmask_b32_e32 v5, v5, v21, vcc
.LBB6_30:                               ;   in Loop: Header=BB6_4 Depth=1
	s_or_b64 exec, exec, s[26:27]
	s_and_saveexec_b64 s[10:11], s[2:3]
	s_cbranch_execz .LBB6_32
; %bb.31:                               ;   in Loop: Header=BB6_4 Depth=1
	ds_write_b64 v20, v[8:9]
	ds_write_b32 v20, v5 offset:8
.LBB6_32:                               ;   in Loop: Header=BB6_4 Depth=1
	s_or_b64 exec, exec, s[10:11]
	v_mov_b32_e32 v8, 0
	v_mov_b32_e32 v9, 0
	s_waitcnt lgkmcnt(0)
	v_mov_b32_e32 v21, 0
	s_barrier
	s_and_saveexec_b64 s[10:11], s[8:9]
	s_cbranch_execz .LBB6_34
; %bb.33:                               ;   in Loop: Header=BB6_4 Depth=1
	ds_read_b64 v[8:9], v12
	ds_read_b32 v21, v12 offset:8
.LBB6_34:                               ;   in Loop: Header=BB6_4 Depth=1
	s_or_b64 exec, exec, s[10:11]
	s_and_saveexec_b64 s[26:27], s[0:1]
	s_cbranch_execz .LBB6_50
; %bb.35:                               ;   in Loop: Header=BB6_4 Depth=1
	s_waitcnt lgkmcnt(1)
	ds_bpermute_b32 v10, v15, v8
	ds_bpermute_b32 v11, v15, v9
	s_waitcnt lgkmcnt(2)
	ds_bpermute_b32 v22, v15, v21
	v_mov_b32_e32 v5, v21
	s_waitcnt lgkmcnt(1)
	v_cmp_ne_u64_e32 vcc, 0, v[10:11]
	s_and_saveexec_b64 s[12:13], vcc
	s_cbranch_execz .LBB6_39
; %bb.36:                               ;   in Loop: Header=BB6_4 Depth=1
	v_cmp_ne_u64_e32 vcc, 0, v[8:9]
	s_waitcnt lgkmcnt(0)
	v_cmp_nlt_f32_e64 s[10:11], v21, v22
	s_and_b64 s[10:11], vcc, s[10:11]
	s_and_saveexec_b64 s[14:15], s[10:11]
; %bb.37:                               ;   in Loop: Header=BB6_4 Depth=1
	v_cmp_lt_i64_e32 vcc, v[10:11], v[8:9]
	v_cmp_eq_f32_e64 s[10:11], v21, v22
	v_cndmask_b32_e32 v5, v9, v11, vcc
	s_and_b64 vcc, s[10:11], vcc
	v_cndmask_b32_e64 v11, v9, v5, s[10:11]
	v_cndmask_b32_e32 v10, v8, v10, vcc
	v_mov_b32_e32 v22, v21
; %bb.38:                               ;   in Loop: Header=BB6_4 Depth=1
	s_or_b64 exec, exec, s[14:15]
	v_mov_b32_e32 v8, v10
	v_mov_b32_e32 v21, v22
	;; [unrolled: 1-line block ×4, first 2 shown]
.LBB6_39:                               ;   in Loop: Header=BB6_4 Depth=1
	s_or_b64 exec, exec, s[12:13]
	ds_bpermute_b32 v10, v16, v8
	ds_bpermute_b32 v11, v16, v9
	s_waitcnt lgkmcnt(2)
	ds_bpermute_b32 v22, v16, v21
	s_waitcnt lgkmcnt(1)
	v_cmp_ne_u64_e32 vcc, 0, v[10:11]
	s_and_saveexec_b64 s[12:13], vcc
	s_cbranch_execz .LBB6_43
; %bb.40:                               ;   in Loop: Header=BB6_4 Depth=1
	v_cmp_ne_u64_e32 vcc, 0, v[8:9]
	s_waitcnt lgkmcnt(0)
	v_cmp_nlt_f32_e64 s[10:11], v5, v22
	s_and_b64 s[10:11], vcc, s[10:11]
	v_mov_b32_e32 v23, v22
	s_and_saveexec_b64 s[14:15], s[10:11]
; %bb.41:                               ;   in Loop: Header=BB6_4 Depth=1
	v_cmp_lt_i64_e32 vcc, v[10:11], v[8:9]
	v_cmp_eq_f32_e64 s[10:11], v5, v22
	v_cndmask_b32_e32 v11, v9, v11, vcc
	s_and_b64 vcc, s[10:11], vcc
	v_cndmask_b32_e64 v11, v9, v11, s[10:11]
	v_cndmask_b32_e32 v10, v8, v10, vcc
	v_mov_b32_e32 v23, v5
	v_mov_b32_e32 v22, v21
; %bb.42:                               ;   in Loop: Header=BB6_4 Depth=1
	s_or_b64 exec, exec, s[14:15]
	v_mov_b32_e32 v8, v10
	v_mov_b32_e32 v21, v22
	;; [unrolled: 1-line block ×4, first 2 shown]
.LBB6_43:                               ;   in Loop: Header=BB6_4 Depth=1
	s_or_b64 exec, exec, s[12:13]
	ds_bpermute_b32 v10, v17, v8
	ds_bpermute_b32 v11, v17, v9
	s_waitcnt lgkmcnt(2)
	ds_bpermute_b32 v22, v17, v21
	s_waitcnt lgkmcnt(1)
	v_cmp_ne_u64_e32 vcc, 0, v[10:11]
	s_and_saveexec_b64 s[12:13], vcc
	s_cbranch_execz .LBB6_47
; %bb.44:                               ;   in Loop: Header=BB6_4 Depth=1
	v_cmp_ne_u64_e32 vcc, 0, v[8:9]
	s_waitcnt lgkmcnt(0)
	v_cmp_nlt_f32_e64 s[10:11], v5, v22
	s_and_b64 s[10:11], vcc, s[10:11]
	v_mov_b32_e32 v23, v22
	s_and_saveexec_b64 s[14:15], s[10:11]
; %bb.45:                               ;   in Loop: Header=BB6_4 Depth=1
	v_cmp_lt_i64_e32 vcc, v[10:11], v[8:9]
	v_cmp_eq_f32_e64 s[10:11], v5, v22
	v_cndmask_b32_e32 v11, v9, v11, vcc
	s_and_b64 vcc, s[10:11], vcc
	v_cndmask_b32_e64 v11, v9, v11, s[10:11]
	v_cndmask_b32_e32 v10, v8, v10, vcc
	v_mov_b32_e32 v23, v5
	v_mov_b32_e32 v22, v21
; %bb.46:                               ;   in Loop: Header=BB6_4 Depth=1
	s_or_b64 exec, exec, s[14:15]
	v_mov_b32_e32 v8, v10
	v_mov_b32_e32 v21, v22
	;; [unrolled: 1-line block ×4, first 2 shown]
.LBB6_47:                               ;   in Loop: Header=BB6_4 Depth=1
	s_or_b64 exec, exec, s[12:13]
	ds_bpermute_b32 v10, v18, v8
	ds_bpermute_b32 v11, v18, v9
	;; [unrolled: 1-line block ×3, first 2 shown]
	s_waitcnt lgkmcnt(1)
	v_cmp_ne_u64_e32 vcc, 0, v[10:11]
	s_and_saveexec_b64 s[28:29], vcc
	s_cbranch_execz .LBB6_49
; %bb.48:                               ;   in Loop: Header=BB6_4 Depth=1
	v_cmp_eq_u64_e32 vcc, 0, v[8:9]
	v_cmp_lt_i64_e64 s[12:13], v[10:11], v[8:9]
	s_waitcnt lgkmcnt(0)
	v_cmp_lt_f32_e64 s[10:11], v5, v21
	v_cmp_eq_f32_e64 s[14:15], v5, v21
	s_and_b64 s[12:13], s[14:15], s[12:13]
	s_or_b64 vcc, vcc, s[10:11]
	v_cndmask_b32_e64 v9, v9, v11, s[12:13]
	s_or_b64 s[10:11], vcc, s[12:13]
	v_cndmask_b32_e32 v9, v9, v11, vcc
	v_cndmask_b32_e64 v8, v8, v10, s[10:11]
	v_cndmask_b32_e32 v5, v5, v21, vcc
.LBB6_49:                               ;   in Loop: Header=BB6_4 Depth=1
	s_or_b64 exec, exec, s[28:29]
	s_waitcnt lgkmcnt(0)
	v_mov_b32_e32 v21, v5
.LBB6_50:                               ;   in Loop: Header=BB6_4 Depth=1
	s_or_b64 exec, exec, s[26:27]
	s_waitcnt lgkmcnt(1)
	v_cmp_ne_u64_e32 vcc, 0, v[8:9]
	s_and_b64 s[10:11], s[22:23], vcc
	s_and_saveexec_b64 s[12:13], s[10:11]
	s_cbranch_execz .LBB6_3
; %bb.51:                               ;   in Loop: Header=BB6_4 Depth=1
	v_cmp_ne_u64_e32 vcc, 0, v[1:2]
	s_waitcnt lgkmcnt(0)
	v_cmp_ngt_f32_e64 s[10:11], v21, v3
	s_and_b64 s[10:11], vcc, s[10:11]
	v_mov_b32_e32 v5, v21
	s_and_saveexec_b64 s[14:15], s[10:11]
	s_cbranch_execz .LBB6_2
; %bb.52:                               ;   in Loop: Header=BB6_4 Depth=1
	v_cmp_lt_i64_e32 vcc, v[8:9], v[1:2]
	v_cmp_eq_f32_e64 s[10:11], v3, v21
	v_cndmask_b32_e32 v5, v2, v9, vcc
	s_and_b64 vcc, s[10:11], vcc
	v_cndmask_b32_e64 v9, v2, v5, s[10:11]
	v_cndmask_b32_e32 v8, v1, v8, vcc
	v_mov_b32_e32 v5, v3
	s_branch .LBB6_2
.LBB6_53:
	v_mov_b32_e32 v1, 0
	v_mov_b32_e32 v2, 0
.LBB6_54:
	s_mov_b32 s7, 0
	v_cmp_eq_u32_e32 vcc, 0, v0
	s_and_saveexec_b64 s[0:1], vcc
	s_cbranch_execz .LBB6_56
; %bb.55:
	s_load_dword s2, s[4:5], 0x30
	s_load_dwordx2 s[0:1], s[4:5], 0x28
	v_mov_b32_e32 v0, 0
	s_waitcnt lgkmcnt(0)
	s_mul_hi_u32 s3, s2, s24
	s_mul_i32 s2, s2, s24
	s_lshl_b64 s[2:3], s[2:3], 4
	s_add_u32 s2, s0, s2
	s_addc_u32 s3, s1, s3
	s_lshl_b64 s[0:1], s[6:7], 4
	s_add_u32 s0, s2, s0
	s_addc_u32 s1, s3, s1
	global_store_dwordx3 v0, v[1:3], s[0:1]
.LBB6_56:
	s_endpgm
	.section	.rodata,"a",@progbits
	.p2align	6, 0x0
	.amdhsa_kernel _ZL35rocblas_iamax_iamin_kernel_part1_64ILi1024E26rocblas_fetch_amax_amin_64IfE22rocblas_reduce_amax_64PKPKf24rocblas_index_64_value_tIfEEvlT2_lllPT3_
		.amdhsa_group_segment_fixed_size 1024
		.amdhsa_private_segment_fixed_size 0
		.amdhsa_kernarg_size 304
		.amdhsa_user_sgpr_count 6
		.amdhsa_user_sgpr_private_segment_buffer 1
		.amdhsa_user_sgpr_dispatch_ptr 0
		.amdhsa_user_sgpr_queue_ptr 0
		.amdhsa_user_sgpr_kernarg_segment_ptr 1
		.amdhsa_user_sgpr_dispatch_id 0
		.amdhsa_user_sgpr_flat_scratch_init 0
		.amdhsa_user_sgpr_private_segment_size 0
		.amdhsa_uses_dynamic_stack 0
		.amdhsa_system_sgpr_private_segment_wavefront_offset 0
		.amdhsa_system_sgpr_workgroup_id_x 1
		.amdhsa_system_sgpr_workgroup_id_y 0
		.amdhsa_system_sgpr_workgroup_id_z 1
		.amdhsa_system_sgpr_workgroup_info 0
		.amdhsa_system_vgpr_workitem_id 0
		.amdhsa_next_free_vgpr 24
		.amdhsa_next_free_sgpr 30
		.amdhsa_reserve_vcc 1
		.amdhsa_reserve_flat_scratch 0
		.amdhsa_float_round_mode_32 0
		.amdhsa_float_round_mode_16_64 0
		.amdhsa_float_denorm_mode_32 3
		.amdhsa_float_denorm_mode_16_64 3
		.amdhsa_dx10_clamp 1
		.amdhsa_ieee_mode 1
		.amdhsa_fp16_overflow 0
		.amdhsa_exception_fp_ieee_invalid_op 0
		.amdhsa_exception_fp_denorm_src 0
		.amdhsa_exception_fp_ieee_div_zero 0
		.amdhsa_exception_fp_ieee_overflow 0
		.amdhsa_exception_fp_ieee_underflow 0
		.amdhsa_exception_fp_ieee_inexact 0
		.amdhsa_exception_int_div_zero 0
	.end_amdhsa_kernel
	.section	.text._ZL35rocblas_iamax_iamin_kernel_part1_64ILi1024E26rocblas_fetch_amax_amin_64IfE22rocblas_reduce_amax_64PKPKf24rocblas_index_64_value_tIfEEvlT2_lllPT3_,"axG",@progbits,_ZL35rocblas_iamax_iamin_kernel_part1_64ILi1024E26rocblas_fetch_amax_amin_64IfE22rocblas_reduce_amax_64PKPKf24rocblas_index_64_value_tIfEEvlT2_lllPT3_,comdat
.Lfunc_end6:
	.size	_ZL35rocblas_iamax_iamin_kernel_part1_64ILi1024E26rocblas_fetch_amax_amin_64IfE22rocblas_reduce_amax_64PKPKf24rocblas_index_64_value_tIfEEvlT2_lllPT3_, .Lfunc_end6-_ZL35rocblas_iamax_iamin_kernel_part1_64ILi1024E26rocblas_fetch_amax_amin_64IfE22rocblas_reduce_amax_64PKPKf24rocblas_index_64_value_tIfEEvlT2_lllPT3_
                                        ; -- End function
	.set _ZL35rocblas_iamax_iamin_kernel_part1_64ILi1024E26rocblas_fetch_amax_amin_64IfE22rocblas_reduce_amax_64PKPKf24rocblas_index_64_value_tIfEEvlT2_lllPT3_.num_vgpr, 24
	.set _ZL35rocblas_iamax_iamin_kernel_part1_64ILi1024E26rocblas_fetch_amax_amin_64IfE22rocblas_reduce_amax_64PKPKf24rocblas_index_64_value_tIfEEvlT2_lllPT3_.num_agpr, 0
	.set _ZL35rocblas_iamax_iamin_kernel_part1_64ILi1024E26rocblas_fetch_amax_amin_64IfE22rocblas_reduce_amax_64PKPKf24rocblas_index_64_value_tIfEEvlT2_lllPT3_.numbered_sgpr, 30
	.set _ZL35rocblas_iamax_iamin_kernel_part1_64ILi1024E26rocblas_fetch_amax_amin_64IfE22rocblas_reduce_amax_64PKPKf24rocblas_index_64_value_tIfEEvlT2_lllPT3_.num_named_barrier, 0
	.set _ZL35rocblas_iamax_iamin_kernel_part1_64ILi1024E26rocblas_fetch_amax_amin_64IfE22rocblas_reduce_amax_64PKPKf24rocblas_index_64_value_tIfEEvlT2_lllPT3_.private_seg_size, 0
	.set _ZL35rocblas_iamax_iamin_kernel_part1_64ILi1024E26rocblas_fetch_amax_amin_64IfE22rocblas_reduce_amax_64PKPKf24rocblas_index_64_value_tIfEEvlT2_lllPT3_.uses_vcc, 1
	.set _ZL35rocblas_iamax_iamin_kernel_part1_64ILi1024E26rocblas_fetch_amax_amin_64IfE22rocblas_reduce_amax_64PKPKf24rocblas_index_64_value_tIfEEvlT2_lllPT3_.uses_flat_scratch, 0
	.set _ZL35rocblas_iamax_iamin_kernel_part1_64ILi1024E26rocblas_fetch_amax_amin_64IfE22rocblas_reduce_amax_64PKPKf24rocblas_index_64_value_tIfEEvlT2_lllPT3_.has_dyn_sized_stack, 0
	.set _ZL35rocblas_iamax_iamin_kernel_part1_64ILi1024E26rocblas_fetch_amax_amin_64IfE22rocblas_reduce_amax_64PKPKf24rocblas_index_64_value_tIfEEvlT2_lllPT3_.has_recursion, 0
	.set _ZL35rocblas_iamax_iamin_kernel_part1_64ILi1024E26rocblas_fetch_amax_amin_64IfE22rocblas_reduce_amax_64PKPKf24rocblas_index_64_value_tIfEEvlT2_lllPT3_.has_indirect_call, 0
	.section	.AMDGPU.csdata,"",@progbits
; Kernel info:
; codeLenInByte = 2104
; TotalNumSgprs: 34
; NumVgprs: 24
; ScratchSize: 0
; MemoryBound: 0
; FloatMode: 240
; IeeeMode: 1
; LDSByteSize: 1024 bytes/workgroup (compile time only)
; SGPRBlocks: 4
; VGPRBlocks: 5
; NumSGPRsForWavesPerEU: 34
; NumVGPRsForWavesPerEU: 24
; Occupancy: 10
; WaveLimiterHint : 0
; COMPUTE_PGM_RSRC2:SCRATCH_EN: 0
; COMPUTE_PGM_RSRC2:USER_SGPR: 6
; COMPUTE_PGM_RSRC2:TRAP_HANDLER: 0
; COMPUTE_PGM_RSRC2:TGID_X_EN: 1
; COMPUTE_PGM_RSRC2:TGID_Y_EN: 0
; COMPUTE_PGM_RSRC2:TGID_Z_EN: 1
; COMPUTE_PGM_RSRC2:TIDIG_COMP_CNT: 0
	.section	.text._ZL35rocblas_iamax_iamin_kernel_part1_64ILi1024E26rocblas_fetch_amax_amin_64IdE22rocblas_reduce_amax_64PKPKd24rocblas_index_64_value_tIdEEvlT2_lllPT3_,"axG",@progbits,_ZL35rocblas_iamax_iamin_kernel_part1_64ILi1024E26rocblas_fetch_amax_amin_64IdE22rocblas_reduce_amax_64PKPKd24rocblas_index_64_value_tIdEEvlT2_lllPT3_,comdat
	.globl	_ZL35rocblas_iamax_iamin_kernel_part1_64ILi1024E26rocblas_fetch_amax_amin_64IdE22rocblas_reduce_amax_64PKPKd24rocblas_index_64_value_tIdEEvlT2_lllPT3_ ; -- Begin function _ZL35rocblas_iamax_iamin_kernel_part1_64ILi1024E26rocblas_fetch_amax_amin_64IdE22rocblas_reduce_amax_64PKPKd24rocblas_index_64_value_tIdEEvlT2_lllPT3_
	.p2align	8
	.type	_ZL35rocblas_iamax_iamin_kernel_part1_64ILi1024E26rocblas_fetch_amax_amin_64IdE22rocblas_reduce_amax_64PKPKd24rocblas_index_64_value_tIdEEvlT2_lllPT3_,@function
_ZL35rocblas_iamax_iamin_kernel_part1_64ILi1024E26rocblas_fetch_amax_amin_64IdE22rocblas_reduce_amax_64PKPKd24rocblas_index_64_value_tIdEEvlT2_lllPT3_: ; @_ZL35rocblas_iamax_iamin_kernel_part1_64ILi1024E26rocblas_fetch_amax_amin_64IdE22rocblas_reduce_amax_64PKPKd24rocblas_index_64_value_tIdEEvlT2_lllPT3_
; %bb.0:
	s_load_dwordx8 s[16:23], s[4:5], 0x0
	s_mov_b32 s24, s7
	s_mov_b32 s25, 0
	s_waitcnt lgkmcnt(0)
	v_cmp_lt_i64_e64 s[0:1], s[16:17], 1
	s_and_b64 vcc, exec, s[0:1]
	s_cbranch_vccnz .LBB7_53
; %bb.1:
	v_mbcnt_lo_u32_b32 v2, -1, 0
	v_mbcnt_hi_u32_b32 v2, -1, v2
	v_and_b32_e32 v3, 63, v2
	v_mov_b32_e32 v4, 0x80
	v_cmp_gt_u32_e32 vcc, 48, v3
	v_lshl_or_b32 v22, v2, 2, v4
	v_cndmask_b32_e64 v4, 0, 16, vcc
	v_cmp_gt_u32_e32 vcc, 56, v3
	v_add_lshl_u32 v23, v4, v2, 2
	v_cndmask_b32_e64 v4, 0, 8, vcc
	v_cmp_gt_u32_e32 vcc, 60, v3
	v_add_lshl_u32 v24, v4, v2, 2
	;; [unrolled: 3-line block ×3, first 2 shown]
	v_cndmask_b32_e64 v4, 0, 2, vcc
	v_cmp_ne_u32_e32 vcc, 63, v3
	v_and_b32_e32 v1, 63, v0
	v_add_lshl_u32 v26, v4, v2, 2
	v_addc_co_u32_e32 v2, vcc, 0, v2, vcc
	v_lshl_or_b32 v28, s6, 10, v0
	s_lshl_b64 s[0:1], s[24:25], 3
	v_lshlrev_b32_e32 v21, 4, v1
	v_lshlrev_b32_e32 v27, 2, v2
	v_cmp_eq_u32_e64 s[2:3], 0, v1
	v_mad_u64_u32 v[1:2], s[8:9], s22, v28, 0
	s_add_u32 s0, s18, s0
	s_addc_u32 s1, s19, s1
	s_load_dword s7, s[4:5], 0x30
	s_load_dwordx2 s[10:11], s[0:1], 0x0
	v_lshrrev_b32_e32 v3, 2, v0
	v_and_b32_e32 v29, 0xf0, v3
	v_mad_u64_u32 v[2:3], s[12:13], s23, v28, v[2:3]
	s_waitcnt lgkmcnt(0)
	s_lshl_b32 s7, s7, 10
	s_lshl_b64 s[12:13], s[20:21], 3
	v_lshlrev_b64 v[1:2], 3, v[1:2]
	s_add_u32 s10, s10, s12
	s_addc_u32 s11, s11, s13
	v_mov_b32_e32 v3, s11
	v_add_co_u32_e64 v15, s[10:11], s10, v1
	v_addc_co_u32_e64 v16, s[10:11], v3, v2, s[10:11]
	s_mul_i32 s10, s23, s7
	s_mul_hi_u32 s11, s22, s7
	v_cmp_ne_u32_e32 vcc, 0, v0
	s_add_i32 s11, s11, s10
	s_mul_i32 s10, s22, s7
	v_mov_b32_e32 v1, 0
	v_cmp_gt_u32_e64 s[0:1], 64, v0
	v_cmp_gt_u32_e64 s[8:9], 16, v0
	v_mov_b32_e32 v5, 0
	s_lshl_b64 s[18:19], s[10:11], 3
	s_mov_b64 s[20:21], 0
	v_mov_b32_e32 v2, 0
	s_xor_b64 s[22:23], vcc, -1
                                        ; implicit-def: $vgpr9_vgpr10
	s_branch .LBB7_4
.LBB7_2:                                ;   in Loop: Header=BB7_4 Depth=1
	s_or_b64 exec, exec, s[14:15]
	v_mov_b32_e32 v1, v7
	v_mov_b32_e32 v3, v11
	;; [unrolled: 1-line block ×4, first 2 shown]
.LBB7_3:                                ;   in Loop: Header=BB7_4 Depth=1
	s_or_b64 exec, exec, s[12:13]
	s_add_u32 s20, s20, s7
	v_mov_b32_e32 v6, s16
	s_addc_u32 s21, s21, 0
	v_mov_b32_e32 v7, s17
	v_cmp_ge_i64_e32 vcc, s[20:21], v[6:7]
	v_mov_b32_e32 v8, s19
	v_add_co_u32_e64 v15, s[10:11], s18, v15
	v_addc_co_u32_e64 v16, s[10:11], v16, v8, s[10:11]
	s_cbranch_vccnz .LBB7_54
.LBB7_4:                                ; =>This Inner Loop Header: Depth=1
	v_mov_b32_e32 v7, s21
	v_add_co_u32_e32 v6, vcc, s20, v28
	v_addc_co_u32_e32 v7, vcc, 0, v7, vcc
	v_cmp_gt_i64_e32 vcc, s[16:17], v[6:7]
	v_mov_b32_e32 v11, 0
	v_mov_b32_e32 v12, 0
	s_and_saveexec_b64 s[10:11], vcc
	s_cbranch_execz .LBB7_6
; %bb.5:                                ;   in Loop: Header=BB7_4 Depth=1
	flat_load_dwordx2 v[9:10], v[15:16]
	v_add_co_u32_e32 v11, vcc, 1, v6
	v_addc_co_u32_e32 v12, vcc, 0, v7, vcc
	s_waitcnt vmcnt(0) lgkmcnt(0)
	v_cmp_gt_f64_e32 vcc, 0, v[9:10]
	v_xor_b32_e32 v6, 0x80000000, v10
	v_cndmask_b32_e32 v10, v10, v6, vcc
.LBB7_6:                                ;   in Loop: Header=BB7_4 Depth=1
	s_or_b64 exec, exec, s[10:11]
	s_and_saveexec_b64 s[10:11], s[0:1]
; %bb.7:                                ;   in Loop: Header=BB7_4 Depth=1
	v_mov_b32_e32 v6, v5
	v_mov_b32_e32 v7, v5
	;; [unrolled: 1-line block ×3, first 2 shown]
	ds_write_b128 v21, v[5:8]
; %bb.8:                                ;   in Loop: Header=BB7_4 Depth=1
	s_or_b64 exec, exec, s[10:11]
	ds_bpermute_b32 v6, v22, v11
	ds_bpermute_b32 v7, v22, v12
	;; [unrolled: 1-line block ×4, first 2 shown]
	v_mov_b32_e32 v14, v10
	v_mov_b32_e32 v13, v9
	s_waitcnt lgkmcnt(2)
	v_cmp_ne_u64_e32 vcc, 0, v[6:7]
	s_waitcnt lgkmcnt(0)
	s_barrier
	s_and_saveexec_b64 s[12:13], vcc
	s_cbranch_execz .LBB7_12
; %bb.9:                                ;   in Loop: Header=BB7_4 Depth=1
	v_cmp_nlt_f64_e32 vcc, v[9:10], v[17:18]
	v_cmp_ne_u64_e64 s[10:11], 0, v[11:12]
	v_mov_b32_e32 v13, v17
	v_mov_b32_e32 v14, v18
	s_and_b64 s[10:11], s[10:11], vcc
	s_and_saveexec_b64 s[14:15], s[10:11]
	s_cbranch_execz .LBB7_11
; %bb.10:                               ;   in Loop: Header=BB7_4 Depth=1
	v_cmp_eq_f64_e64 s[10:11], v[9:10], v[17:18]
	v_cmp_lt_i64_e32 vcc, v[6:7], v[11:12]
	v_mov_b32_e32 v14, v10
	v_cndmask_b32_e32 v7, v12, v7, vcc
	v_mov_b32_e32 v13, v9
	v_mov_b32_e32 v17, v9
	;; [unrolled: 1-line block ×3, first 2 shown]
	s_and_b64 vcc, s[10:11], vcc
	v_cndmask_b32_e64 v7, v12, v7, s[10:11]
	v_cndmask_b32_e32 v6, v11, v6, vcc
.LBB7_11:                               ;   in Loop: Header=BB7_4 Depth=1
	s_or_b64 exec, exec, s[14:15]
	v_mov_b32_e32 v12, v7
	v_mov_b32_e32 v10, v18
	;; [unrolled: 1-line block ×4, first 2 shown]
.LBB7_12:                               ;   in Loop: Header=BB7_4 Depth=1
	s_or_b64 exec, exec, s[12:13]
	ds_bpermute_b32 v6, v23, v11
	ds_bpermute_b32 v7, v23, v12
	;; [unrolled: 1-line block ×4, first 2 shown]
	s_waitcnt lgkmcnt(2)
	v_cmp_ne_u64_e32 vcc, 0, v[6:7]
	s_and_saveexec_b64 s[12:13], vcc
	s_cbranch_execz .LBB7_16
; %bb.13:                               ;   in Loop: Header=BB7_4 Depth=1
	s_waitcnt lgkmcnt(0)
	v_cmp_nlt_f64_e32 vcc, v[13:14], v[17:18]
	v_cmp_ne_u64_e64 s[10:11], 0, v[11:12]
	v_mov_b32_e32 v20, v18
	v_mov_b32_e32 v19, v17
	s_and_b64 s[10:11], s[10:11], vcc
	s_and_saveexec_b64 s[14:15], s[10:11]
	s_cbranch_execz .LBB7_15
; %bb.14:                               ;   in Loop: Header=BB7_4 Depth=1
	v_cmp_eq_f64_e64 s[10:11], v[13:14], v[17:18]
	v_cmp_lt_i64_e32 vcc, v[6:7], v[11:12]
	v_mov_b32_e32 v20, v14
	v_cndmask_b32_e32 v7, v12, v7, vcc
	v_mov_b32_e32 v19, v13
	v_mov_b32_e32 v17, v9
	v_mov_b32_e32 v18, v10
	s_and_b64 vcc, s[10:11], vcc
	v_cndmask_b32_e64 v7, v12, v7, s[10:11]
	v_cndmask_b32_e32 v6, v11, v6, vcc
.LBB7_15:                               ;   in Loop: Header=BB7_4 Depth=1
	s_or_b64 exec, exec, s[14:15]
	v_mov_b32_e32 v12, v7
	v_mov_b32_e32 v13, v19
	v_mov_b32_e32 v10, v18
	v_mov_b32_e32 v9, v17
	v_mov_b32_e32 v11, v6
	v_mov_b32_e32 v14, v20
.LBB7_16:                               ;   in Loop: Header=BB7_4 Depth=1
	s_or_b64 exec, exec, s[12:13]
	ds_bpermute_b32 v6, v24, v11
	ds_bpermute_b32 v7, v24, v12
	s_waitcnt lgkmcnt(3)
	ds_bpermute_b32 v17, v24, v9
	s_waitcnt lgkmcnt(3)
	ds_bpermute_b32 v18, v24, v10
	s_waitcnt lgkmcnt(2)
	v_cmp_ne_u64_e32 vcc, 0, v[6:7]
	s_and_saveexec_b64 s[12:13], vcc
	s_cbranch_execz .LBB7_20
; %bb.17:                               ;   in Loop: Header=BB7_4 Depth=1
	s_waitcnt lgkmcnt(0)
	v_cmp_nlt_f64_e32 vcc, v[13:14], v[17:18]
	v_cmp_ne_u64_e64 s[10:11], 0, v[11:12]
	v_mov_b32_e32 v20, v18
	v_mov_b32_e32 v19, v17
	s_and_b64 s[10:11], s[10:11], vcc
	s_and_saveexec_b64 s[14:15], s[10:11]
	s_cbranch_execz .LBB7_19
; %bb.18:                               ;   in Loop: Header=BB7_4 Depth=1
	v_cmp_eq_f64_e64 s[10:11], v[13:14], v[17:18]
	v_cmp_lt_i64_e32 vcc, v[6:7], v[11:12]
	v_mov_b32_e32 v20, v14
	v_cndmask_b32_e32 v7, v12, v7, vcc
	v_mov_b32_e32 v19, v13
	v_mov_b32_e32 v17, v9
	v_mov_b32_e32 v18, v10
	s_and_b64 vcc, s[10:11], vcc
	v_cndmask_b32_e64 v7, v12, v7, s[10:11]
	v_cndmask_b32_e32 v6, v11, v6, vcc
.LBB7_19:                               ;   in Loop: Header=BB7_4 Depth=1
	s_or_b64 exec, exec, s[14:15]
	v_mov_b32_e32 v12, v7
	v_mov_b32_e32 v13, v19
	v_mov_b32_e32 v10, v18
	v_mov_b32_e32 v9, v17
	v_mov_b32_e32 v11, v6
	v_mov_b32_e32 v14, v20
.LBB7_20:                               ;   in Loop: Header=BB7_4 Depth=1
	s_or_b64 exec, exec, s[12:13]
	ds_bpermute_b32 v6, v25, v11
	ds_bpermute_b32 v7, v25, v12
	s_waitcnt lgkmcnt(3)
	ds_bpermute_b32 v17, v25, v9
	s_waitcnt lgkmcnt(3)
	ds_bpermute_b32 v18, v25, v10
	;; [unrolled: 40-line block ×3, first 2 shown]
	s_waitcnt lgkmcnt(2)
	v_cmp_ne_u64_e32 vcc, 0, v[6:7]
	s_and_saveexec_b64 s[12:13], vcc
	s_cbranch_execz .LBB7_28
; %bb.25:                               ;   in Loop: Header=BB7_4 Depth=1
	s_waitcnt lgkmcnt(0)
	v_cmp_nlt_f64_e32 vcc, v[13:14], v[17:18]
	v_cmp_ne_u64_e64 s[10:11], 0, v[11:12]
	v_mov_b32_e32 v20, v18
	v_mov_b32_e32 v19, v17
	s_and_b64 s[10:11], s[10:11], vcc
	s_and_saveexec_b64 s[14:15], s[10:11]
	s_cbranch_execz .LBB7_27
; %bb.26:                               ;   in Loop: Header=BB7_4 Depth=1
	v_cmp_eq_f64_e64 s[10:11], v[13:14], v[17:18]
	v_cmp_lt_i64_e32 vcc, v[6:7], v[11:12]
	v_mov_b32_e32 v20, v14
	v_cndmask_b32_e32 v7, v12, v7, vcc
	v_mov_b32_e32 v19, v13
	v_mov_b32_e32 v17, v9
	;; [unrolled: 1-line block ×3, first 2 shown]
	s_and_b64 vcc, s[10:11], vcc
	v_cndmask_b32_e64 v7, v12, v7, s[10:11]
	v_cndmask_b32_e32 v6, v11, v6, vcc
.LBB7_27:                               ;   in Loop: Header=BB7_4 Depth=1
	s_or_b64 exec, exec, s[14:15]
	v_mov_b32_e32 v12, v7
	v_mov_b32_e32 v13, v19
	;; [unrolled: 1-line block ×6, first 2 shown]
.LBB7_28:                               ;   in Loop: Header=BB7_4 Depth=1
	s_or_b64 exec, exec, s[12:13]
	ds_bpermute_b32 v6, v27, v11
	ds_bpermute_b32 v7, v27, v12
	;; [unrolled: 1-line block ×4, first 2 shown]
	s_waitcnt lgkmcnt(2)
	v_cmp_ne_u64_e32 vcc, 0, v[6:7]
	s_and_saveexec_b64 s[26:27], vcc
	s_cbranch_execz .LBB7_30
; %bb.29:                               ;   in Loop: Header=BB7_4 Depth=1
	s_waitcnt lgkmcnt(0)
	v_mov_b32_e32 v9, v10
	v_cmp_eq_f64_e32 vcc, v[13:14], v[8:9]
	v_cmp_lt_f64_e64 s[10:11], v[13:14], v[8:9]
	v_cmp_lt_i64_e64 s[12:13], v[6:7], v[11:12]
	v_cmp_eq_u64_e64 s[14:15], 0, v[11:12]
	s_and_b64 s[12:13], vcc, s[12:13]
	s_or_b64 vcc, s[14:15], s[10:11]
	s_or_b64 s[10:11], vcc, s[12:13]
	v_cndmask_b32_e32 v14, v14, v10, vcc
	v_cndmask_b32_e64 v12, v12, v7, s[10:11]
	v_cndmask_b32_e64 v11, v11, v6, s[10:11]
	v_cndmask_b32_e32 v13, v13, v8, vcc
.LBB7_30:                               ;   in Loop: Header=BB7_4 Depth=1
	s_or_b64 exec, exec, s[26:27]
	s_and_saveexec_b64 s[10:11], s[2:3]
; %bb.31:                               ;   in Loop: Header=BB7_4 Depth=1
	ds_write_b128 v29, v[11:14]
; %bb.32:                               ;   in Loop: Header=BB7_4 Depth=1
	s_or_b64 exec, exec, s[10:11]
	s_waitcnt lgkmcnt(0)
	v_mov_b32_e32 v9, 0
	v_mov_b32_e32 v7, 0
	;; [unrolled: 1-line block ×4, first 2 shown]
	s_barrier
	s_and_saveexec_b64 s[10:11], s[8:9]
; %bb.33:                               ;   in Loop: Header=BB7_4 Depth=1
	ds_read_b128 v[7:10], v21
; %bb.34:                               ;   in Loop: Header=BB7_4 Depth=1
	s_or_b64 exec, exec, s[10:11]
	s_and_saveexec_b64 s[26:27], s[0:1]
	s_cbranch_execz .LBB7_50
; %bb.35:                               ;   in Loop: Header=BB7_4 Depth=1
	s_waitcnt lgkmcnt(0)
	ds_bpermute_b32 v13, v24, v7
	ds_bpermute_b32 v14, v24, v8
	;; [unrolled: 1-line block ×4, first 2 shown]
	v_mov_b32_e32 v12, v10
	v_mov_b32_e32 v11, v9
	s_waitcnt lgkmcnt(2)
	v_cmp_ne_u64_e32 vcc, 0, v[13:14]
	s_and_saveexec_b64 s[12:13], vcc
	s_cbranch_execz .LBB7_39
; %bb.36:                               ;   in Loop: Header=BB7_4 Depth=1
	s_waitcnt lgkmcnt(0)
	v_cmp_nlt_f64_e32 vcc, v[9:10], v[17:18]
	v_cmp_ne_u64_e64 s[10:11], 0, v[7:8]
	v_mov_b32_e32 v11, v17
	v_mov_b32_e32 v12, v18
	s_and_b64 s[10:11], s[10:11], vcc
	s_and_saveexec_b64 s[14:15], s[10:11]
	s_cbranch_execz .LBB7_38
; %bb.37:                               ;   in Loop: Header=BB7_4 Depth=1
	v_cmp_eq_f64_e64 s[10:11], v[9:10], v[17:18]
	v_cmp_lt_i64_e32 vcc, v[13:14], v[7:8]
	v_mov_b32_e32 v12, v10
	v_cndmask_b32_e32 v6, v8, v14, vcc
	v_mov_b32_e32 v11, v9
	v_mov_b32_e32 v17, v9
	;; [unrolled: 1-line block ×3, first 2 shown]
	s_and_b64 vcc, s[10:11], vcc
	v_cndmask_b32_e64 v14, v8, v6, s[10:11]
	v_cndmask_b32_e32 v13, v7, v13, vcc
.LBB7_38:                               ;   in Loop: Header=BB7_4 Depth=1
	s_or_b64 exec, exec, s[14:15]
	v_mov_b32_e32 v7, v13
	v_mov_b32_e32 v10, v18
	;; [unrolled: 1-line block ×4, first 2 shown]
.LBB7_39:                               ;   in Loop: Header=BB7_4 Depth=1
	s_or_b64 exec, exec, s[12:13]
	ds_bpermute_b32 v13, v25, v7
	ds_bpermute_b32 v14, v25, v8
	s_waitcnt lgkmcnt(3)
	ds_bpermute_b32 v17, v25, v9
	s_waitcnt lgkmcnt(3)
	;; [unrolled: 2-line block ×3, first 2 shown]
	v_cmp_ne_u64_e32 vcc, 0, v[13:14]
	s_and_saveexec_b64 s[12:13], vcc
	s_cbranch_execz .LBB7_43
; %bb.40:                               ;   in Loop: Header=BB7_4 Depth=1
	s_waitcnt lgkmcnt(0)
	v_cmp_nlt_f64_e32 vcc, v[11:12], v[17:18]
	v_cmp_ne_u64_e64 s[10:11], 0, v[7:8]
	v_mov_b32_e32 v20, v18
	v_mov_b32_e32 v19, v17
	s_and_b64 s[10:11], s[10:11], vcc
	s_and_saveexec_b64 s[14:15], s[10:11]
	s_cbranch_execz .LBB7_42
; %bb.41:                               ;   in Loop: Header=BB7_4 Depth=1
	v_cmp_eq_f64_e64 s[10:11], v[11:12], v[17:18]
	v_cmp_lt_i64_e32 vcc, v[13:14], v[7:8]
	v_mov_b32_e32 v20, v12
	v_cndmask_b32_e32 v6, v8, v14, vcc
	v_mov_b32_e32 v19, v11
	v_mov_b32_e32 v17, v9
	;; [unrolled: 1-line block ×3, first 2 shown]
	s_and_b64 vcc, s[10:11], vcc
	v_cndmask_b32_e64 v14, v8, v6, s[10:11]
	v_cndmask_b32_e32 v13, v7, v13, vcc
.LBB7_42:                               ;   in Loop: Header=BB7_4 Depth=1
	s_or_b64 exec, exec, s[14:15]
	v_mov_b32_e32 v7, v13
	v_mov_b32_e32 v11, v19
	v_mov_b32_e32 v10, v18
	v_mov_b32_e32 v9, v17
	v_mov_b32_e32 v8, v14
	v_mov_b32_e32 v12, v20
.LBB7_43:                               ;   in Loop: Header=BB7_4 Depth=1
	s_or_b64 exec, exec, s[12:13]
	ds_bpermute_b32 v13, v26, v7
	ds_bpermute_b32 v14, v26, v8
	s_waitcnt lgkmcnt(3)
	ds_bpermute_b32 v17, v26, v9
	s_waitcnt lgkmcnt(3)
	;; [unrolled: 2-line block ×3, first 2 shown]
	v_cmp_ne_u64_e32 vcc, 0, v[13:14]
	s_and_saveexec_b64 s[12:13], vcc
	s_cbranch_execz .LBB7_47
; %bb.44:                               ;   in Loop: Header=BB7_4 Depth=1
	s_waitcnt lgkmcnt(0)
	v_cmp_nlt_f64_e32 vcc, v[11:12], v[17:18]
	v_cmp_ne_u64_e64 s[10:11], 0, v[7:8]
	v_mov_b32_e32 v20, v18
	v_mov_b32_e32 v19, v17
	s_and_b64 s[10:11], s[10:11], vcc
	s_and_saveexec_b64 s[14:15], s[10:11]
	s_cbranch_execz .LBB7_46
; %bb.45:                               ;   in Loop: Header=BB7_4 Depth=1
	v_cmp_eq_f64_e64 s[10:11], v[11:12], v[17:18]
	v_cmp_lt_i64_e32 vcc, v[13:14], v[7:8]
	v_mov_b32_e32 v20, v12
	v_cndmask_b32_e32 v6, v8, v14, vcc
	v_mov_b32_e32 v19, v11
	v_mov_b32_e32 v17, v9
	v_mov_b32_e32 v18, v10
	s_and_b64 vcc, s[10:11], vcc
	v_cndmask_b32_e64 v14, v8, v6, s[10:11]
	v_cndmask_b32_e32 v13, v7, v13, vcc
.LBB7_46:                               ;   in Loop: Header=BB7_4 Depth=1
	s_or_b64 exec, exec, s[14:15]
	v_mov_b32_e32 v7, v13
	v_mov_b32_e32 v11, v19
	;; [unrolled: 1-line block ×6, first 2 shown]
.LBB7_47:                               ;   in Loop: Header=BB7_4 Depth=1
	s_or_b64 exec, exec, s[12:13]
	ds_bpermute_b32 v13, v27, v7
	ds_bpermute_b32 v14, v27, v8
	ds_bpermute_b32 v9, v27, v9
	ds_bpermute_b32 v6, v27, v10
	s_waitcnt lgkmcnt(2)
	v_cmp_ne_u64_e32 vcc, 0, v[13:14]
	s_and_saveexec_b64 s[28:29], vcc
	s_cbranch_execz .LBB7_49
; %bb.48:                               ;   in Loop: Header=BB7_4 Depth=1
	s_waitcnt lgkmcnt(0)
	v_mov_b32_e32 v10, v6
	v_cmp_eq_f64_e32 vcc, v[11:12], v[9:10]
	v_cmp_lt_f64_e64 s[10:11], v[11:12], v[9:10]
	v_cmp_lt_i64_e64 s[12:13], v[13:14], v[7:8]
	v_cmp_eq_u64_e64 s[14:15], 0, v[7:8]
	s_and_b64 s[12:13], vcc, s[12:13]
	s_or_b64 vcc, s[14:15], s[10:11]
	s_or_b64 s[10:11], vcc, s[12:13]
	v_cndmask_b32_e32 v12, v12, v6, vcc
	v_cndmask_b32_e64 v8, v8, v14, s[10:11]
	v_cndmask_b32_e64 v7, v7, v13, s[10:11]
	v_cndmask_b32_e32 v11, v11, v9, vcc
.LBB7_49:                               ;   in Loop: Header=BB7_4 Depth=1
	s_or_b64 exec, exec, s[28:29]
	s_waitcnt lgkmcnt(1)
	v_mov_b32_e32 v9, v11
	v_mov_b32_e32 v10, v12
.LBB7_50:                               ;   in Loop: Header=BB7_4 Depth=1
	s_or_b64 exec, exec, s[26:27]
	s_waitcnt lgkmcnt(0)
	v_cmp_ne_u64_e32 vcc, 0, v[7:8]
	s_and_b64 s[10:11], s[22:23], vcc
	s_and_saveexec_b64 s[12:13], s[10:11]
	s_cbranch_execz .LBB7_3
; %bb.51:                               ;   in Loop: Header=BB7_4 Depth=1
	v_cmp_ngt_f64_e32 vcc, v[9:10], v[3:4]
	v_cmp_ne_u64_e64 s[10:11], 0, v[1:2]
	v_mov_b32_e32 v12, v10
	v_mov_b32_e32 v11, v9
	s_and_b64 s[10:11], s[10:11], vcc
	s_and_saveexec_b64 s[14:15], s[10:11]
	s_cbranch_execz .LBB7_2
; %bb.52:                               ;   in Loop: Header=BB7_4 Depth=1
	v_cmp_eq_f64_e64 s[10:11], v[3:4], v[9:10]
	v_cmp_lt_i64_e32 vcc, v[7:8], v[1:2]
	v_mov_b32_e32 v12, v4
	v_cndmask_b32_e32 v6, v2, v8, vcc
	v_mov_b32_e32 v11, v3
	s_and_b64 vcc, s[10:11], vcc
	v_cndmask_b32_e64 v8, v2, v6, s[10:11]
	v_cndmask_b32_e32 v7, v1, v7, vcc
	s_branch .LBB7_2
.LBB7_53:
	v_mov_b32_e32 v1, 0
	v_mov_b32_e32 v2, 0
.LBB7_54:
	s_mov_b32 s7, 0
	v_cmp_eq_u32_e32 vcc, 0, v0
	s_and_saveexec_b64 s[0:1], vcc
	s_cbranch_execz .LBB7_56
; %bb.55:
	s_load_dword s2, s[4:5], 0x30
	s_load_dwordx2 s[0:1], s[4:5], 0x28
	v_mov_b32_e32 v0, 0
	s_waitcnt lgkmcnt(0)
	s_mul_hi_u32 s3, s2, s24
	s_mul_i32 s2, s2, s24
	s_lshl_b64 s[2:3], s[2:3], 4
	s_add_u32 s2, s0, s2
	s_addc_u32 s3, s1, s3
	s_lshl_b64 s[0:1], s[6:7], 4
	s_add_u32 s0, s2, s0
	s_addc_u32 s1, s3, s1
	global_store_dwordx4 v0, v[1:4], s[0:1]
.LBB7_56:
	s_endpgm
	.section	.rodata,"a",@progbits
	.p2align	6, 0x0
	.amdhsa_kernel _ZL35rocblas_iamax_iamin_kernel_part1_64ILi1024E26rocblas_fetch_amax_amin_64IdE22rocblas_reduce_amax_64PKPKd24rocblas_index_64_value_tIdEEvlT2_lllPT3_
		.amdhsa_group_segment_fixed_size 1024
		.amdhsa_private_segment_fixed_size 0
		.amdhsa_kernarg_size 304
		.amdhsa_user_sgpr_count 6
		.amdhsa_user_sgpr_private_segment_buffer 1
		.amdhsa_user_sgpr_dispatch_ptr 0
		.amdhsa_user_sgpr_queue_ptr 0
		.amdhsa_user_sgpr_kernarg_segment_ptr 1
		.amdhsa_user_sgpr_dispatch_id 0
		.amdhsa_user_sgpr_flat_scratch_init 0
		.amdhsa_user_sgpr_private_segment_size 0
		.amdhsa_uses_dynamic_stack 0
		.amdhsa_system_sgpr_private_segment_wavefront_offset 0
		.amdhsa_system_sgpr_workgroup_id_x 1
		.amdhsa_system_sgpr_workgroup_id_y 0
		.amdhsa_system_sgpr_workgroup_id_z 1
		.amdhsa_system_sgpr_workgroup_info 0
		.amdhsa_system_vgpr_workitem_id 0
		.amdhsa_next_free_vgpr 30
		.amdhsa_next_free_sgpr 30
		.amdhsa_reserve_vcc 1
		.amdhsa_reserve_flat_scratch 0
		.amdhsa_float_round_mode_32 0
		.amdhsa_float_round_mode_16_64 0
		.amdhsa_float_denorm_mode_32 3
		.amdhsa_float_denorm_mode_16_64 3
		.amdhsa_dx10_clamp 1
		.amdhsa_ieee_mode 1
		.amdhsa_fp16_overflow 0
		.amdhsa_exception_fp_ieee_invalid_op 0
		.amdhsa_exception_fp_denorm_src 0
		.amdhsa_exception_fp_ieee_div_zero 0
		.amdhsa_exception_fp_ieee_overflow 0
		.amdhsa_exception_fp_ieee_underflow 0
		.amdhsa_exception_fp_ieee_inexact 0
		.amdhsa_exception_int_div_zero 0
	.end_amdhsa_kernel
	.section	.text._ZL35rocblas_iamax_iamin_kernel_part1_64ILi1024E26rocblas_fetch_amax_amin_64IdE22rocblas_reduce_amax_64PKPKd24rocblas_index_64_value_tIdEEvlT2_lllPT3_,"axG",@progbits,_ZL35rocblas_iamax_iamin_kernel_part1_64ILi1024E26rocblas_fetch_amax_amin_64IdE22rocblas_reduce_amax_64PKPKd24rocblas_index_64_value_tIdEEvlT2_lllPT3_,comdat
.Lfunc_end7:
	.size	_ZL35rocblas_iamax_iamin_kernel_part1_64ILi1024E26rocblas_fetch_amax_amin_64IdE22rocblas_reduce_amax_64PKPKd24rocblas_index_64_value_tIdEEvlT2_lllPT3_, .Lfunc_end7-_ZL35rocblas_iamax_iamin_kernel_part1_64ILi1024E26rocblas_fetch_amax_amin_64IdE22rocblas_reduce_amax_64PKPKd24rocblas_index_64_value_tIdEEvlT2_lllPT3_
                                        ; -- End function
	.set _ZL35rocblas_iamax_iamin_kernel_part1_64ILi1024E26rocblas_fetch_amax_amin_64IdE22rocblas_reduce_amax_64PKPKd24rocblas_index_64_value_tIdEEvlT2_lllPT3_.num_vgpr, 30
	.set _ZL35rocblas_iamax_iamin_kernel_part1_64ILi1024E26rocblas_fetch_amax_amin_64IdE22rocblas_reduce_amax_64PKPKd24rocblas_index_64_value_tIdEEvlT2_lllPT3_.num_agpr, 0
	.set _ZL35rocblas_iamax_iamin_kernel_part1_64ILi1024E26rocblas_fetch_amax_amin_64IdE22rocblas_reduce_amax_64PKPKd24rocblas_index_64_value_tIdEEvlT2_lllPT3_.numbered_sgpr, 30
	.set _ZL35rocblas_iamax_iamin_kernel_part1_64ILi1024E26rocblas_fetch_amax_amin_64IdE22rocblas_reduce_amax_64PKPKd24rocblas_index_64_value_tIdEEvlT2_lllPT3_.num_named_barrier, 0
	.set _ZL35rocblas_iamax_iamin_kernel_part1_64ILi1024E26rocblas_fetch_amax_amin_64IdE22rocblas_reduce_amax_64PKPKd24rocblas_index_64_value_tIdEEvlT2_lllPT3_.private_seg_size, 0
	.set _ZL35rocblas_iamax_iamin_kernel_part1_64ILi1024E26rocblas_fetch_amax_amin_64IdE22rocblas_reduce_amax_64PKPKd24rocblas_index_64_value_tIdEEvlT2_lllPT3_.uses_vcc, 1
	.set _ZL35rocblas_iamax_iamin_kernel_part1_64ILi1024E26rocblas_fetch_amax_amin_64IdE22rocblas_reduce_amax_64PKPKd24rocblas_index_64_value_tIdEEvlT2_lllPT3_.uses_flat_scratch, 0
	.set _ZL35rocblas_iamax_iamin_kernel_part1_64ILi1024E26rocblas_fetch_amax_amin_64IdE22rocblas_reduce_amax_64PKPKd24rocblas_index_64_value_tIdEEvlT2_lllPT3_.has_dyn_sized_stack, 0
	.set _ZL35rocblas_iamax_iamin_kernel_part1_64ILi1024E26rocblas_fetch_amax_amin_64IdE22rocblas_reduce_amax_64PKPKd24rocblas_index_64_value_tIdEEvlT2_lllPT3_.has_recursion, 0
	.set _ZL35rocblas_iamax_iamin_kernel_part1_64ILi1024E26rocblas_fetch_amax_amin_64IdE22rocblas_reduce_amax_64PKPKd24rocblas_index_64_value_tIdEEvlT2_lllPT3_.has_indirect_call, 0
	.section	.AMDGPU.csdata,"",@progbits
; Kernel info:
; codeLenInByte = 2400
; TotalNumSgprs: 34
; NumVgprs: 30
; ScratchSize: 0
; MemoryBound: 0
; FloatMode: 240
; IeeeMode: 1
; LDSByteSize: 1024 bytes/workgroup (compile time only)
; SGPRBlocks: 4
; VGPRBlocks: 7
; NumSGPRsForWavesPerEU: 34
; NumVGPRsForWavesPerEU: 30
; Occupancy: 8
; WaveLimiterHint : 0
; COMPUTE_PGM_RSRC2:SCRATCH_EN: 0
; COMPUTE_PGM_RSRC2:USER_SGPR: 6
; COMPUTE_PGM_RSRC2:TRAP_HANDLER: 0
; COMPUTE_PGM_RSRC2:TGID_X_EN: 1
; COMPUTE_PGM_RSRC2:TGID_Y_EN: 0
; COMPUTE_PGM_RSRC2:TGID_Z_EN: 1
; COMPUTE_PGM_RSRC2:TIDIG_COMP_CNT: 0
	.section	.text._ZL35rocblas_iamax_iamin_kernel_part1_64ILi1024E26rocblas_fetch_amax_amin_64IfE22rocblas_reduce_amax_64PKPK19rocblas_complex_numIfE24rocblas_index_64_value_tIfEEvlT2_lllPT3_,"axG",@progbits,_ZL35rocblas_iamax_iamin_kernel_part1_64ILi1024E26rocblas_fetch_amax_amin_64IfE22rocblas_reduce_amax_64PKPK19rocblas_complex_numIfE24rocblas_index_64_value_tIfEEvlT2_lllPT3_,comdat
	.globl	_ZL35rocblas_iamax_iamin_kernel_part1_64ILi1024E26rocblas_fetch_amax_amin_64IfE22rocblas_reduce_amax_64PKPK19rocblas_complex_numIfE24rocblas_index_64_value_tIfEEvlT2_lllPT3_ ; -- Begin function _ZL35rocblas_iamax_iamin_kernel_part1_64ILi1024E26rocblas_fetch_amax_amin_64IfE22rocblas_reduce_amax_64PKPK19rocblas_complex_numIfE24rocblas_index_64_value_tIfEEvlT2_lllPT3_
	.p2align	8
	.type	_ZL35rocblas_iamax_iamin_kernel_part1_64ILi1024E26rocblas_fetch_amax_amin_64IfE22rocblas_reduce_amax_64PKPK19rocblas_complex_numIfE24rocblas_index_64_value_tIfEEvlT2_lllPT3_,@function
_ZL35rocblas_iamax_iamin_kernel_part1_64ILi1024E26rocblas_fetch_amax_amin_64IfE22rocblas_reduce_amax_64PKPK19rocblas_complex_numIfE24rocblas_index_64_value_tIfEEvlT2_lllPT3_: ; @_ZL35rocblas_iamax_iamin_kernel_part1_64ILi1024E26rocblas_fetch_amax_amin_64IfE22rocblas_reduce_amax_64PKPK19rocblas_complex_numIfE24rocblas_index_64_value_tIfEEvlT2_lllPT3_
; %bb.0:
	s_load_dwordx8 s[16:23], s[4:5], 0x0
	s_mov_b32 s24, s7
	s_mov_b32 s25, 0
	s_waitcnt lgkmcnt(0)
	v_cmp_lt_i64_e64 s[0:1], s[16:17], 1
	s_and_b64 vcc, exec, s[0:1]
	s_cbranch_vccnz .LBB8_53
; %bb.1:
	v_mbcnt_lo_u32_b32 v2, -1, 0
	v_mbcnt_hi_u32_b32 v2, -1, v2
	v_and_b32_e32 v3, 63, v2
	v_mov_b32_e32 v4, 0x80
	v_cmp_gt_u32_e32 vcc, 48, v3
	v_lshl_or_b32 v13, v2, 2, v4
	v_cndmask_b32_e64 v4, 0, 16, vcc
	v_cmp_gt_u32_e32 vcc, 56, v3
	v_add_lshl_u32 v14, v4, v2, 2
	v_cndmask_b32_e64 v4, 0, 8, vcc
	v_cmp_gt_u32_e32 vcc, 60, v3
	v_add_lshl_u32 v15, v4, v2, 2
	;; [unrolled: 3-line block ×3, first 2 shown]
	v_cndmask_b32_e64 v4, 0, 2, vcc
	v_cmp_ne_u32_e32 vcc, 63, v3
	v_and_b32_e32 v1, 63, v0
	v_add_lshl_u32 v17, v4, v2, 2
	v_addc_co_u32_e32 v2, vcc, 0, v2, vcc
	v_lshl_or_b32 v19, s6, 10, v0
	s_lshl_b64 s[0:1], s[24:25], 3
	v_lshlrev_b32_e32 v12, 4, v1
	v_lshlrev_b32_e32 v18, 2, v2
	v_cmp_eq_u32_e64 s[2:3], 0, v1
	v_mad_u64_u32 v[1:2], s[8:9], s22, v19, 0
	s_add_u32 s0, s18, s0
	s_addc_u32 s1, s19, s1
	s_load_dword s7, s[4:5], 0x30
	s_load_dwordx2 s[10:11], s[0:1], 0x0
	v_lshrrev_b32_e32 v3, 2, v0
	v_and_b32_e32 v20, 0xf0, v3
	v_mad_u64_u32 v[2:3], s[12:13], s23, v19, v[2:3]
	s_waitcnt lgkmcnt(0)
	s_lshl_b32 s7, s7, 10
	s_lshl_b64 s[12:13], s[20:21], 3
	v_lshlrev_b64 v[1:2], 3, v[1:2]
	s_add_u32 s10, s10, s12
	s_addc_u32 s11, s11, s13
	v_mov_b32_e32 v3, s11
	v_add_co_u32_e64 v6, s[10:11], s10, v1
	v_addc_co_u32_e64 v7, s[10:11], v3, v2, s[10:11]
	s_mul_i32 s10, s23, s7
	s_mul_hi_u32 s11, s22, s7
	v_cmp_ne_u32_e32 vcc, 0, v0
	s_add_i32 s11, s11, s10
	s_mul_i32 s10, s22, s7
	v_mov_b32_e32 v1, 0
	v_cmp_gt_u32_e64 s[0:1], 64, v0
	v_cmp_gt_u32_e64 s[8:9], 16, v0
	v_mov_b32_e32 v4, 0
	s_lshl_b64 s[18:19], s[10:11], 3
	s_mov_b64 s[20:21], 0
	v_mov_b32_e32 v2, 0
	s_xor_b64 s[22:23], vcc, -1
                                        ; implicit-def: $vgpr21
	s_branch .LBB8_4
.LBB8_2:                                ;   in Loop: Header=BB8_4 Depth=1
	s_or_b64 exec, exec, s[14:15]
	v_mov_b32_e32 v1, v8
	v_mov_b32_e32 v2, v9
	;; [unrolled: 1-line block ×3, first 2 shown]
.LBB8_3:                                ;   in Loop: Header=BB8_4 Depth=1
	s_or_b64 exec, exec, s[12:13]
	s_add_u32 s20, s20, s7
	v_mov_b32_e32 v8, s16
	s_addc_u32 s21, s21, 0
	v_mov_b32_e32 v9, s17
	v_cmp_ge_i64_e32 vcc, s[20:21], v[8:9]
	v_mov_b32_e32 v5, s19
	v_add_co_u32_e64 v6, s[10:11], s18, v6
	v_addc_co_u32_e64 v7, s[10:11], v7, v5, s[10:11]
	s_cbranch_vccnz .LBB8_54
.LBB8_4:                                ; =>This Inner Loop Header: Depth=1
	v_mov_b32_e32 v5, s21
	v_add_co_u32_e32 v10, vcc, s20, v19
	v_addc_co_u32_e32 v11, vcc, 0, v5, vcc
	v_cmp_gt_i64_e32 vcc, s[16:17], v[10:11]
	v_mov_b32_e32 v8, 0
	v_mov_b32_e32 v9, 0
	s_and_saveexec_b64 s[10:11], vcc
	s_cbranch_execz .LBB8_6
; %bb.5:                                ;   in Loop: Header=BB8_4 Depth=1
	s_waitcnt lgkmcnt(0)
	flat_load_dwordx2 v[21:22], v[6:7]
	v_add_co_u32_e32 v8, vcc, 1, v10
	v_addc_co_u32_e32 v9, vcc, 0, v11, vcc
	s_waitcnt vmcnt(0) lgkmcnt(0)
	v_cmp_gt_f32_e32 vcc, 0, v21
	v_cndmask_b32_e64 v5, v21, -v21, vcc
	v_cmp_gt_f32_e32 vcc, 0, v22
	v_cndmask_b32_e64 v10, v22, -v22, vcc
	v_add_f32_e32 v21, v5, v10
.LBB8_6:                                ;   in Loop: Header=BB8_4 Depth=1
	s_or_b64 exec, exec, s[10:11]
	s_and_saveexec_b64 s[10:11], s[0:1]
	s_cbranch_execz .LBB8_8
; %bb.7:                                ;   in Loop: Header=BB8_4 Depth=1
	v_mov_b32_e32 v5, v4
	ds_write_b64 v12, v[4:5]
	ds_write_b32 v12, v4 offset:8
.LBB8_8:                                ;   in Loop: Header=BB8_4 Depth=1
	s_or_b64 exec, exec, s[10:11]
	ds_bpermute_b32 v10, v13, v8
	ds_bpermute_b32 v11, v13, v9
	s_waitcnt lgkmcnt(2)
	ds_bpermute_b32 v22, v13, v21
	v_mov_b32_e32 v5, v21
	s_waitcnt lgkmcnt(0)
	s_barrier
	v_cmp_ne_u64_e32 vcc, 0, v[10:11]
	s_and_saveexec_b64 s[12:13], vcc
	s_cbranch_execz .LBB8_12
; %bb.9:                                ;   in Loop: Header=BB8_4 Depth=1
	v_cmp_ne_u64_e32 vcc, 0, v[8:9]
	v_cmp_nlt_f32_e64 s[10:11], v21, v22
	s_and_b64 s[10:11], vcc, s[10:11]
	s_and_saveexec_b64 s[14:15], s[10:11]
; %bb.10:                               ;   in Loop: Header=BB8_4 Depth=1
	v_cmp_lt_i64_e32 vcc, v[10:11], v[8:9]
	v_cmp_eq_f32_e64 s[10:11], v21, v22
	v_cndmask_b32_e32 v5, v9, v11, vcc
	s_and_b64 vcc, s[10:11], vcc
	v_cndmask_b32_e64 v11, v9, v5, s[10:11]
	v_cndmask_b32_e32 v10, v8, v10, vcc
	v_mov_b32_e32 v22, v21
; %bb.11:                               ;   in Loop: Header=BB8_4 Depth=1
	s_or_b64 exec, exec, s[14:15]
	v_mov_b32_e32 v8, v10
	v_mov_b32_e32 v21, v22
	;; [unrolled: 1-line block ×4, first 2 shown]
.LBB8_12:                               ;   in Loop: Header=BB8_4 Depth=1
	s_or_b64 exec, exec, s[12:13]
	ds_bpermute_b32 v10, v14, v8
	ds_bpermute_b32 v11, v14, v9
	;; [unrolled: 1-line block ×3, first 2 shown]
	s_waitcnt lgkmcnt(1)
	v_cmp_ne_u64_e32 vcc, 0, v[10:11]
	s_and_saveexec_b64 s[12:13], vcc
	s_cbranch_execz .LBB8_16
; %bb.13:                               ;   in Loop: Header=BB8_4 Depth=1
	v_cmp_ne_u64_e32 vcc, 0, v[8:9]
	s_waitcnt lgkmcnt(0)
	v_cmp_nlt_f32_e64 s[10:11], v5, v22
	s_and_b64 s[10:11], vcc, s[10:11]
	v_mov_b32_e32 v23, v22
	s_and_saveexec_b64 s[14:15], s[10:11]
; %bb.14:                               ;   in Loop: Header=BB8_4 Depth=1
	v_cmp_lt_i64_e32 vcc, v[10:11], v[8:9]
	v_cmp_eq_f32_e64 s[10:11], v5, v22
	v_cndmask_b32_e32 v11, v9, v11, vcc
	s_and_b64 vcc, s[10:11], vcc
	v_cndmask_b32_e64 v11, v9, v11, s[10:11]
	v_cndmask_b32_e32 v10, v8, v10, vcc
	v_mov_b32_e32 v23, v5
	v_mov_b32_e32 v22, v21
; %bb.15:                               ;   in Loop: Header=BB8_4 Depth=1
	s_or_b64 exec, exec, s[14:15]
	v_mov_b32_e32 v8, v10
	v_mov_b32_e32 v21, v22
	v_mov_b32_e32 v9, v11
	v_mov_b32_e32 v5, v23
.LBB8_16:                               ;   in Loop: Header=BB8_4 Depth=1
	s_or_b64 exec, exec, s[12:13]
	ds_bpermute_b32 v10, v15, v8
	ds_bpermute_b32 v11, v15, v9
	s_waitcnt lgkmcnt(2)
	ds_bpermute_b32 v22, v15, v21
	s_waitcnt lgkmcnt(1)
	v_cmp_ne_u64_e32 vcc, 0, v[10:11]
	s_and_saveexec_b64 s[12:13], vcc
	s_cbranch_execz .LBB8_20
; %bb.17:                               ;   in Loop: Header=BB8_4 Depth=1
	v_cmp_ne_u64_e32 vcc, 0, v[8:9]
	s_waitcnt lgkmcnt(0)
	v_cmp_nlt_f32_e64 s[10:11], v5, v22
	s_and_b64 s[10:11], vcc, s[10:11]
	v_mov_b32_e32 v23, v22
	s_and_saveexec_b64 s[14:15], s[10:11]
; %bb.18:                               ;   in Loop: Header=BB8_4 Depth=1
	v_cmp_lt_i64_e32 vcc, v[10:11], v[8:9]
	v_cmp_eq_f32_e64 s[10:11], v5, v22
	v_cndmask_b32_e32 v11, v9, v11, vcc
	s_and_b64 vcc, s[10:11], vcc
	v_cndmask_b32_e64 v11, v9, v11, s[10:11]
	v_cndmask_b32_e32 v10, v8, v10, vcc
	v_mov_b32_e32 v23, v5
	v_mov_b32_e32 v22, v21
; %bb.19:                               ;   in Loop: Header=BB8_4 Depth=1
	s_or_b64 exec, exec, s[14:15]
	v_mov_b32_e32 v8, v10
	v_mov_b32_e32 v21, v22
	v_mov_b32_e32 v9, v11
	v_mov_b32_e32 v5, v23
.LBB8_20:                               ;   in Loop: Header=BB8_4 Depth=1
	s_or_b64 exec, exec, s[12:13]
	ds_bpermute_b32 v10, v16, v8
	ds_bpermute_b32 v11, v16, v9
	s_waitcnt lgkmcnt(2)
	ds_bpermute_b32 v22, v16, v21
	;; [unrolled: 32-line block ×3, first 2 shown]
	s_waitcnt lgkmcnt(1)
	v_cmp_ne_u64_e32 vcc, 0, v[10:11]
	s_and_saveexec_b64 s[12:13], vcc
	s_cbranch_execz .LBB8_28
; %bb.25:                               ;   in Loop: Header=BB8_4 Depth=1
	v_cmp_ne_u64_e32 vcc, 0, v[8:9]
	s_waitcnt lgkmcnt(0)
	v_cmp_nlt_f32_e64 s[10:11], v5, v22
	s_and_b64 s[10:11], vcc, s[10:11]
	v_mov_b32_e32 v23, v22
	s_and_saveexec_b64 s[14:15], s[10:11]
; %bb.26:                               ;   in Loop: Header=BB8_4 Depth=1
	v_cmp_lt_i64_e32 vcc, v[10:11], v[8:9]
	v_cmp_eq_f32_e64 s[10:11], v5, v22
	v_cndmask_b32_e32 v11, v9, v11, vcc
	s_and_b64 vcc, s[10:11], vcc
	v_cndmask_b32_e64 v11, v9, v11, s[10:11]
	v_cndmask_b32_e32 v10, v8, v10, vcc
	v_mov_b32_e32 v23, v5
	v_mov_b32_e32 v22, v21
; %bb.27:                               ;   in Loop: Header=BB8_4 Depth=1
	s_or_b64 exec, exec, s[14:15]
	v_mov_b32_e32 v8, v10
	v_mov_b32_e32 v21, v22
	;; [unrolled: 1-line block ×4, first 2 shown]
.LBB8_28:                               ;   in Loop: Header=BB8_4 Depth=1
	s_or_b64 exec, exec, s[12:13]
	ds_bpermute_b32 v10, v18, v8
	ds_bpermute_b32 v11, v18, v9
	ds_bpermute_b32 v21, v18, v21
	s_waitcnt lgkmcnt(1)
	v_cmp_ne_u64_e32 vcc, 0, v[10:11]
	s_and_saveexec_b64 s[26:27], vcc
	s_cbranch_execz .LBB8_30
; %bb.29:                               ;   in Loop: Header=BB8_4 Depth=1
	v_cmp_eq_u64_e32 vcc, 0, v[8:9]
	v_cmp_lt_i64_e64 s[12:13], v[10:11], v[8:9]
	s_waitcnt lgkmcnt(0)
	v_cmp_lt_f32_e64 s[10:11], v5, v21
	v_cmp_eq_f32_e64 s[14:15], v5, v21
	s_and_b64 s[12:13], s[14:15], s[12:13]
	s_or_b64 vcc, vcc, s[10:11]
	v_cndmask_b32_e64 v9, v9, v11, s[12:13]
	s_or_b64 s[10:11], vcc, s[12:13]
	v_cndmask_b32_e32 v9, v9, v11, vcc
	v_cndmask_b32_e64 v8, v8, v10, s[10:11]
	v_cndmask_b32_e32 v5, v5, v21, vcc
.LBB8_30:                               ;   in Loop: Header=BB8_4 Depth=1
	s_or_b64 exec, exec, s[26:27]
	s_and_saveexec_b64 s[10:11], s[2:3]
	s_cbranch_execz .LBB8_32
; %bb.31:                               ;   in Loop: Header=BB8_4 Depth=1
	ds_write_b64 v20, v[8:9]
	ds_write_b32 v20, v5 offset:8
.LBB8_32:                               ;   in Loop: Header=BB8_4 Depth=1
	s_or_b64 exec, exec, s[10:11]
	v_mov_b32_e32 v8, 0
	v_mov_b32_e32 v9, 0
	s_waitcnt lgkmcnt(0)
	v_mov_b32_e32 v21, 0
	s_barrier
	s_and_saveexec_b64 s[10:11], s[8:9]
	s_cbranch_execz .LBB8_34
; %bb.33:                               ;   in Loop: Header=BB8_4 Depth=1
	ds_read_b64 v[8:9], v12
	ds_read_b32 v21, v12 offset:8
.LBB8_34:                               ;   in Loop: Header=BB8_4 Depth=1
	s_or_b64 exec, exec, s[10:11]
	s_and_saveexec_b64 s[26:27], s[0:1]
	s_cbranch_execz .LBB8_50
; %bb.35:                               ;   in Loop: Header=BB8_4 Depth=1
	s_waitcnt lgkmcnt(1)
	ds_bpermute_b32 v10, v15, v8
	ds_bpermute_b32 v11, v15, v9
	s_waitcnt lgkmcnt(2)
	ds_bpermute_b32 v22, v15, v21
	v_mov_b32_e32 v5, v21
	s_waitcnt lgkmcnt(1)
	v_cmp_ne_u64_e32 vcc, 0, v[10:11]
	s_and_saveexec_b64 s[12:13], vcc
	s_cbranch_execz .LBB8_39
; %bb.36:                               ;   in Loop: Header=BB8_4 Depth=1
	v_cmp_ne_u64_e32 vcc, 0, v[8:9]
	s_waitcnt lgkmcnt(0)
	v_cmp_nlt_f32_e64 s[10:11], v21, v22
	s_and_b64 s[10:11], vcc, s[10:11]
	s_and_saveexec_b64 s[14:15], s[10:11]
; %bb.37:                               ;   in Loop: Header=BB8_4 Depth=1
	v_cmp_lt_i64_e32 vcc, v[10:11], v[8:9]
	v_cmp_eq_f32_e64 s[10:11], v21, v22
	v_cndmask_b32_e32 v5, v9, v11, vcc
	s_and_b64 vcc, s[10:11], vcc
	v_cndmask_b32_e64 v11, v9, v5, s[10:11]
	v_cndmask_b32_e32 v10, v8, v10, vcc
	v_mov_b32_e32 v22, v21
; %bb.38:                               ;   in Loop: Header=BB8_4 Depth=1
	s_or_b64 exec, exec, s[14:15]
	v_mov_b32_e32 v8, v10
	v_mov_b32_e32 v21, v22
	;; [unrolled: 1-line block ×4, first 2 shown]
.LBB8_39:                               ;   in Loop: Header=BB8_4 Depth=1
	s_or_b64 exec, exec, s[12:13]
	ds_bpermute_b32 v10, v16, v8
	ds_bpermute_b32 v11, v16, v9
	s_waitcnt lgkmcnt(2)
	ds_bpermute_b32 v22, v16, v21
	s_waitcnt lgkmcnt(1)
	v_cmp_ne_u64_e32 vcc, 0, v[10:11]
	s_and_saveexec_b64 s[12:13], vcc
	s_cbranch_execz .LBB8_43
; %bb.40:                               ;   in Loop: Header=BB8_4 Depth=1
	v_cmp_ne_u64_e32 vcc, 0, v[8:9]
	s_waitcnt lgkmcnt(0)
	v_cmp_nlt_f32_e64 s[10:11], v5, v22
	s_and_b64 s[10:11], vcc, s[10:11]
	v_mov_b32_e32 v23, v22
	s_and_saveexec_b64 s[14:15], s[10:11]
; %bb.41:                               ;   in Loop: Header=BB8_4 Depth=1
	v_cmp_lt_i64_e32 vcc, v[10:11], v[8:9]
	v_cmp_eq_f32_e64 s[10:11], v5, v22
	v_cndmask_b32_e32 v11, v9, v11, vcc
	s_and_b64 vcc, s[10:11], vcc
	v_cndmask_b32_e64 v11, v9, v11, s[10:11]
	v_cndmask_b32_e32 v10, v8, v10, vcc
	v_mov_b32_e32 v23, v5
	v_mov_b32_e32 v22, v21
; %bb.42:                               ;   in Loop: Header=BB8_4 Depth=1
	s_or_b64 exec, exec, s[14:15]
	v_mov_b32_e32 v8, v10
	v_mov_b32_e32 v21, v22
	;; [unrolled: 1-line block ×4, first 2 shown]
.LBB8_43:                               ;   in Loop: Header=BB8_4 Depth=1
	s_or_b64 exec, exec, s[12:13]
	ds_bpermute_b32 v10, v17, v8
	ds_bpermute_b32 v11, v17, v9
	s_waitcnt lgkmcnt(2)
	ds_bpermute_b32 v22, v17, v21
	s_waitcnt lgkmcnt(1)
	v_cmp_ne_u64_e32 vcc, 0, v[10:11]
	s_and_saveexec_b64 s[12:13], vcc
	s_cbranch_execz .LBB8_47
; %bb.44:                               ;   in Loop: Header=BB8_4 Depth=1
	v_cmp_ne_u64_e32 vcc, 0, v[8:9]
	s_waitcnt lgkmcnt(0)
	v_cmp_nlt_f32_e64 s[10:11], v5, v22
	s_and_b64 s[10:11], vcc, s[10:11]
	v_mov_b32_e32 v23, v22
	s_and_saveexec_b64 s[14:15], s[10:11]
; %bb.45:                               ;   in Loop: Header=BB8_4 Depth=1
	v_cmp_lt_i64_e32 vcc, v[10:11], v[8:9]
	v_cmp_eq_f32_e64 s[10:11], v5, v22
	v_cndmask_b32_e32 v11, v9, v11, vcc
	s_and_b64 vcc, s[10:11], vcc
	v_cndmask_b32_e64 v11, v9, v11, s[10:11]
	v_cndmask_b32_e32 v10, v8, v10, vcc
	v_mov_b32_e32 v23, v5
	v_mov_b32_e32 v22, v21
; %bb.46:                               ;   in Loop: Header=BB8_4 Depth=1
	s_or_b64 exec, exec, s[14:15]
	v_mov_b32_e32 v8, v10
	v_mov_b32_e32 v21, v22
	;; [unrolled: 1-line block ×4, first 2 shown]
.LBB8_47:                               ;   in Loop: Header=BB8_4 Depth=1
	s_or_b64 exec, exec, s[12:13]
	ds_bpermute_b32 v10, v18, v8
	ds_bpermute_b32 v11, v18, v9
	;; [unrolled: 1-line block ×3, first 2 shown]
	s_waitcnt lgkmcnt(1)
	v_cmp_ne_u64_e32 vcc, 0, v[10:11]
	s_and_saveexec_b64 s[28:29], vcc
	s_cbranch_execz .LBB8_49
; %bb.48:                               ;   in Loop: Header=BB8_4 Depth=1
	v_cmp_eq_u64_e32 vcc, 0, v[8:9]
	v_cmp_lt_i64_e64 s[12:13], v[10:11], v[8:9]
	s_waitcnt lgkmcnt(0)
	v_cmp_lt_f32_e64 s[10:11], v5, v21
	v_cmp_eq_f32_e64 s[14:15], v5, v21
	s_and_b64 s[12:13], s[14:15], s[12:13]
	s_or_b64 vcc, vcc, s[10:11]
	v_cndmask_b32_e64 v9, v9, v11, s[12:13]
	s_or_b64 s[10:11], vcc, s[12:13]
	v_cndmask_b32_e32 v9, v9, v11, vcc
	v_cndmask_b32_e64 v8, v8, v10, s[10:11]
	v_cndmask_b32_e32 v5, v5, v21, vcc
.LBB8_49:                               ;   in Loop: Header=BB8_4 Depth=1
	s_or_b64 exec, exec, s[28:29]
	s_waitcnt lgkmcnt(0)
	v_mov_b32_e32 v21, v5
.LBB8_50:                               ;   in Loop: Header=BB8_4 Depth=1
	s_or_b64 exec, exec, s[26:27]
	s_waitcnt lgkmcnt(1)
	v_cmp_ne_u64_e32 vcc, 0, v[8:9]
	s_and_b64 s[10:11], s[22:23], vcc
	s_and_saveexec_b64 s[12:13], s[10:11]
	s_cbranch_execz .LBB8_3
; %bb.51:                               ;   in Loop: Header=BB8_4 Depth=1
	v_cmp_ne_u64_e32 vcc, 0, v[1:2]
	s_waitcnt lgkmcnt(0)
	v_cmp_ngt_f32_e64 s[10:11], v21, v3
	s_and_b64 s[10:11], vcc, s[10:11]
	v_mov_b32_e32 v5, v21
	s_and_saveexec_b64 s[14:15], s[10:11]
	s_cbranch_execz .LBB8_2
; %bb.52:                               ;   in Loop: Header=BB8_4 Depth=1
	v_cmp_lt_i64_e32 vcc, v[8:9], v[1:2]
	v_cmp_eq_f32_e64 s[10:11], v3, v21
	v_cndmask_b32_e32 v5, v2, v9, vcc
	s_and_b64 vcc, s[10:11], vcc
	v_cndmask_b32_e64 v9, v2, v5, s[10:11]
	v_cndmask_b32_e32 v8, v1, v8, vcc
	v_mov_b32_e32 v5, v3
	s_branch .LBB8_2
.LBB8_53:
	v_mov_b32_e32 v1, 0
	v_mov_b32_e32 v2, 0
.LBB8_54:
	s_mov_b32 s7, 0
	v_cmp_eq_u32_e32 vcc, 0, v0
	s_and_saveexec_b64 s[0:1], vcc
	s_cbranch_execz .LBB8_56
; %bb.55:
	s_load_dword s2, s[4:5], 0x30
	s_load_dwordx2 s[0:1], s[4:5], 0x28
	v_mov_b32_e32 v0, 0
	s_waitcnt lgkmcnt(0)
	s_mul_hi_u32 s3, s2, s24
	s_mul_i32 s2, s2, s24
	s_lshl_b64 s[2:3], s[2:3], 4
	s_add_u32 s2, s0, s2
	s_addc_u32 s3, s1, s3
	s_lshl_b64 s[0:1], s[6:7], 4
	s_add_u32 s0, s2, s0
	s_addc_u32 s1, s3, s1
	global_store_dwordx3 v0, v[1:3], s[0:1]
.LBB8_56:
	s_endpgm
	.section	.rodata,"a",@progbits
	.p2align	6, 0x0
	.amdhsa_kernel _ZL35rocblas_iamax_iamin_kernel_part1_64ILi1024E26rocblas_fetch_amax_amin_64IfE22rocblas_reduce_amax_64PKPK19rocblas_complex_numIfE24rocblas_index_64_value_tIfEEvlT2_lllPT3_
		.amdhsa_group_segment_fixed_size 1024
		.amdhsa_private_segment_fixed_size 0
		.amdhsa_kernarg_size 304
		.amdhsa_user_sgpr_count 6
		.amdhsa_user_sgpr_private_segment_buffer 1
		.amdhsa_user_sgpr_dispatch_ptr 0
		.amdhsa_user_sgpr_queue_ptr 0
		.amdhsa_user_sgpr_kernarg_segment_ptr 1
		.amdhsa_user_sgpr_dispatch_id 0
		.amdhsa_user_sgpr_flat_scratch_init 0
		.amdhsa_user_sgpr_private_segment_size 0
		.amdhsa_uses_dynamic_stack 0
		.amdhsa_system_sgpr_private_segment_wavefront_offset 0
		.amdhsa_system_sgpr_workgroup_id_x 1
		.amdhsa_system_sgpr_workgroup_id_y 0
		.amdhsa_system_sgpr_workgroup_id_z 1
		.amdhsa_system_sgpr_workgroup_info 0
		.amdhsa_system_vgpr_workitem_id 0
		.amdhsa_next_free_vgpr 24
		.amdhsa_next_free_sgpr 30
		.amdhsa_reserve_vcc 1
		.amdhsa_reserve_flat_scratch 0
		.amdhsa_float_round_mode_32 0
		.amdhsa_float_round_mode_16_64 0
		.amdhsa_float_denorm_mode_32 3
		.amdhsa_float_denorm_mode_16_64 3
		.amdhsa_dx10_clamp 1
		.amdhsa_ieee_mode 1
		.amdhsa_fp16_overflow 0
		.amdhsa_exception_fp_ieee_invalid_op 0
		.amdhsa_exception_fp_denorm_src 0
		.amdhsa_exception_fp_ieee_div_zero 0
		.amdhsa_exception_fp_ieee_overflow 0
		.amdhsa_exception_fp_ieee_underflow 0
		.amdhsa_exception_fp_ieee_inexact 0
		.amdhsa_exception_int_div_zero 0
	.end_amdhsa_kernel
	.section	.text._ZL35rocblas_iamax_iamin_kernel_part1_64ILi1024E26rocblas_fetch_amax_amin_64IfE22rocblas_reduce_amax_64PKPK19rocblas_complex_numIfE24rocblas_index_64_value_tIfEEvlT2_lllPT3_,"axG",@progbits,_ZL35rocblas_iamax_iamin_kernel_part1_64ILi1024E26rocblas_fetch_amax_amin_64IfE22rocblas_reduce_amax_64PKPK19rocblas_complex_numIfE24rocblas_index_64_value_tIfEEvlT2_lllPT3_,comdat
.Lfunc_end8:
	.size	_ZL35rocblas_iamax_iamin_kernel_part1_64ILi1024E26rocblas_fetch_amax_amin_64IfE22rocblas_reduce_amax_64PKPK19rocblas_complex_numIfE24rocblas_index_64_value_tIfEEvlT2_lllPT3_, .Lfunc_end8-_ZL35rocblas_iamax_iamin_kernel_part1_64ILi1024E26rocblas_fetch_amax_amin_64IfE22rocblas_reduce_amax_64PKPK19rocblas_complex_numIfE24rocblas_index_64_value_tIfEEvlT2_lllPT3_
                                        ; -- End function
	.set _ZL35rocblas_iamax_iamin_kernel_part1_64ILi1024E26rocblas_fetch_amax_amin_64IfE22rocblas_reduce_amax_64PKPK19rocblas_complex_numIfE24rocblas_index_64_value_tIfEEvlT2_lllPT3_.num_vgpr, 24
	.set _ZL35rocblas_iamax_iamin_kernel_part1_64ILi1024E26rocblas_fetch_amax_amin_64IfE22rocblas_reduce_amax_64PKPK19rocblas_complex_numIfE24rocblas_index_64_value_tIfEEvlT2_lllPT3_.num_agpr, 0
	.set _ZL35rocblas_iamax_iamin_kernel_part1_64ILi1024E26rocblas_fetch_amax_amin_64IfE22rocblas_reduce_amax_64PKPK19rocblas_complex_numIfE24rocblas_index_64_value_tIfEEvlT2_lllPT3_.numbered_sgpr, 30
	.set _ZL35rocblas_iamax_iamin_kernel_part1_64ILi1024E26rocblas_fetch_amax_amin_64IfE22rocblas_reduce_amax_64PKPK19rocblas_complex_numIfE24rocblas_index_64_value_tIfEEvlT2_lllPT3_.num_named_barrier, 0
	.set _ZL35rocblas_iamax_iamin_kernel_part1_64ILi1024E26rocblas_fetch_amax_amin_64IfE22rocblas_reduce_amax_64PKPK19rocblas_complex_numIfE24rocblas_index_64_value_tIfEEvlT2_lllPT3_.private_seg_size, 0
	.set _ZL35rocblas_iamax_iamin_kernel_part1_64ILi1024E26rocblas_fetch_amax_amin_64IfE22rocblas_reduce_amax_64PKPK19rocblas_complex_numIfE24rocblas_index_64_value_tIfEEvlT2_lllPT3_.uses_vcc, 1
	.set _ZL35rocblas_iamax_iamin_kernel_part1_64ILi1024E26rocblas_fetch_amax_amin_64IfE22rocblas_reduce_amax_64PKPK19rocblas_complex_numIfE24rocblas_index_64_value_tIfEEvlT2_lllPT3_.uses_flat_scratch, 0
	.set _ZL35rocblas_iamax_iamin_kernel_part1_64ILi1024E26rocblas_fetch_amax_amin_64IfE22rocblas_reduce_amax_64PKPK19rocblas_complex_numIfE24rocblas_index_64_value_tIfEEvlT2_lllPT3_.has_dyn_sized_stack, 0
	.set _ZL35rocblas_iamax_iamin_kernel_part1_64ILi1024E26rocblas_fetch_amax_amin_64IfE22rocblas_reduce_amax_64PKPK19rocblas_complex_numIfE24rocblas_index_64_value_tIfEEvlT2_lllPT3_.has_recursion, 0
	.set _ZL35rocblas_iamax_iamin_kernel_part1_64ILi1024E26rocblas_fetch_amax_amin_64IfE22rocblas_reduce_amax_64PKPK19rocblas_complex_numIfE24rocblas_index_64_value_tIfEEvlT2_lllPT3_.has_indirect_call, 0
	.section	.AMDGPU.csdata,"",@progbits
; Kernel info:
; codeLenInByte = 2124
; TotalNumSgprs: 34
; NumVgprs: 24
; ScratchSize: 0
; MemoryBound: 0
; FloatMode: 240
; IeeeMode: 1
; LDSByteSize: 1024 bytes/workgroup (compile time only)
; SGPRBlocks: 4
; VGPRBlocks: 5
; NumSGPRsForWavesPerEU: 34
; NumVGPRsForWavesPerEU: 24
; Occupancy: 10
; WaveLimiterHint : 0
; COMPUTE_PGM_RSRC2:SCRATCH_EN: 0
; COMPUTE_PGM_RSRC2:USER_SGPR: 6
; COMPUTE_PGM_RSRC2:TRAP_HANDLER: 0
; COMPUTE_PGM_RSRC2:TGID_X_EN: 1
; COMPUTE_PGM_RSRC2:TGID_Y_EN: 0
; COMPUTE_PGM_RSRC2:TGID_Z_EN: 1
; COMPUTE_PGM_RSRC2:TIDIG_COMP_CNT: 0
	.section	.text._ZL35rocblas_iamax_iamin_kernel_part1_64ILi1024E26rocblas_fetch_amax_amin_64IdE22rocblas_reduce_amax_64PKPK19rocblas_complex_numIdE24rocblas_index_64_value_tIdEEvlT2_lllPT3_,"axG",@progbits,_ZL35rocblas_iamax_iamin_kernel_part1_64ILi1024E26rocblas_fetch_amax_amin_64IdE22rocblas_reduce_amax_64PKPK19rocblas_complex_numIdE24rocblas_index_64_value_tIdEEvlT2_lllPT3_,comdat
	.globl	_ZL35rocblas_iamax_iamin_kernel_part1_64ILi1024E26rocblas_fetch_amax_amin_64IdE22rocblas_reduce_amax_64PKPK19rocblas_complex_numIdE24rocblas_index_64_value_tIdEEvlT2_lllPT3_ ; -- Begin function _ZL35rocblas_iamax_iamin_kernel_part1_64ILi1024E26rocblas_fetch_amax_amin_64IdE22rocblas_reduce_amax_64PKPK19rocblas_complex_numIdE24rocblas_index_64_value_tIdEEvlT2_lllPT3_
	.p2align	8
	.type	_ZL35rocblas_iamax_iamin_kernel_part1_64ILi1024E26rocblas_fetch_amax_amin_64IdE22rocblas_reduce_amax_64PKPK19rocblas_complex_numIdE24rocblas_index_64_value_tIdEEvlT2_lllPT3_,@function
_ZL35rocblas_iamax_iamin_kernel_part1_64ILi1024E26rocblas_fetch_amax_amin_64IdE22rocblas_reduce_amax_64PKPK19rocblas_complex_numIdE24rocblas_index_64_value_tIdEEvlT2_lllPT3_: ; @_ZL35rocblas_iamax_iamin_kernel_part1_64ILi1024E26rocblas_fetch_amax_amin_64IdE22rocblas_reduce_amax_64PKPK19rocblas_complex_numIdE24rocblas_index_64_value_tIdEEvlT2_lllPT3_
; %bb.0:
	s_load_dwordx8 s[16:23], s[4:5], 0x0
	s_mov_b32 s24, s7
	s_mov_b32 s25, 0
	s_waitcnt lgkmcnt(0)
	v_cmp_lt_i64_e64 s[0:1], s[16:17], 1
	s_and_b64 vcc, exec, s[0:1]
	s_cbranch_vccnz .LBB9_53
; %bb.1:
	v_mbcnt_lo_u32_b32 v2, -1, 0
	v_mbcnt_hi_u32_b32 v2, -1, v2
	v_and_b32_e32 v3, 63, v2
	v_mov_b32_e32 v4, 0x80
	v_cmp_gt_u32_e32 vcc, 48, v3
	v_lshl_or_b32 v22, v2, 2, v4
	v_cndmask_b32_e64 v4, 0, 16, vcc
	v_cmp_gt_u32_e32 vcc, 56, v3
	v_add_lshl_u32 v23, v4, v2, 2
	v_cndmask_b32_e64 v4, 0, 8, vcc
	v_cmp_gt_u32_e32 vcc, 60, v3
	v_add_lshl_u32 v24, v4, v2, 2
	;; [unrolled: 3-line block ×3, first 2 shown]
	v_cndmask_b32_e64 v4, 0, 2, vcc
	v_cmp_ne_u32_e32 vcc, 63, v3
	v_and_b32_e32 v1, 63, v0
	v_add_lshl_u32 v26, v4, v2, 2
	v_addc_co_u32_e32 v2, vcc, 0, v2, vcc
	v_lshl_or_b32 v28, s6, 10, v0
	s_lshl_b64 s[0:1], s[24:25], 3
	v_lshlrev_b32_e32 v21, 4, v1
	v_lshlrev_b32_e32 v27, 2, v2
	v_cmp_eq_u32_e64 s[2:3], 0, v1
	v_mad_u64_u32 v[1:2], s[8:9], s22, v28, 0
	s_add_u32 s0, s18, s0
	s_addc_u32 s1, s19, s1
	s_load_dword s7, s[4:5], 0x30
	s_load_dwordx2 s[10:11], s[0:1], 0x0
	v_lshrrev_b32_e32 v3, 2, v0
	v_and_b32_e32 v29, 0xf0, v3
	v_mad_u64_u32 v[2:3], s[12:13], s23, v28, v[2:3]
	s_waitcnt lgkmcnt(0)
	s_lshl_b32 s7, s7, 10
	s_lshl_b64 s[12:13], s[20:21], 4
	v_lshlrev_b64 v[1:2], 4, v[1:2]
	s_add_u32 s10, s10, s12
	s_addc_u32 s11, s11, s13
	v_mov_b32_e32 v3, s11
	v_add_co_u32_e64 v15, s[10:11], s10, v1
	v_addc_co_u32_e64 v16, s[10:11], v3, v2, s[10:11]
	s_mul_i32 s10, s23, s7
	s_mul_hi_u32 s11, s22, s7
	v_cmp_ne_u32_e32 vcc, 0, v0
	s_add_i32 s11, s11, s10
	s_mul_i32 s10, s22, s7
	v_mov_b32_e32 v1, 0
	v_cmp_gt_u32_e64 s[0:1], 64, v0
	v_cmp_gt_u32_e64 s[8:9], 16, v0
	v_mov_b32_e32 v5, 0
	s_lshl_b64 s[18:19], s[10:11], 4
	s_mov_b64 s[20:21], 0
	v_mov_b32_e32 v2, 0
	s_xor_b64 s[22:23], vcc, -1
                                        ; implicit-def: $vgpr9_vgpr10
	s_branch .LBB9_4
.LBB9_2:                                ;   in Loop: Header=BB9_4 Depth=1
	s_or_b64 exec, exec, s[14:15]
	v_mov_b32_e32 v1, v7
	v_mov_b32_e32 v3, v11
	;; [unrolled: 1-line block ×4, first 2 shown]
.LBB9_3:                                ;   in Loop: Header=BB9_4 Depth=1
	s_or_b64 exec, exec, s[12:13]
	s_add_u32 s20, s20, s7
	v_mov_b32_e32 v6, s16
	s_addc_u32 s21, s21, 0
	v_mov_b32_e32 v7, s17
	v_cmp_ge_i64_e32 vcc, s[20:21], v[6:7]
	v_mov_b32_e32 v8, s19
	v_add_co_u32_e64 v15, s[10:11], s18, v15
	v_addc_co_u32_e64 v16, s[10:11], v16, v8, s[10:11]
	s_cbranch_vccnz .LBB9_54
.LBB9_4:                                ; =>This Inner Loop Header: Depth=1
	v_mov_b32_e32 v7, s21
	v_add_co_u32_e32 v6, vcc, s20, v28
	v_addc_co_u32_e32 v7, vcc, 0, v7, vcc
	v_cmp_gt_i64_e32 vcc, s[16:17], v[6:7]
	v_mov_b32_e32 v11, 0
	v_mov_b32_e32 v12, 0
	s_and_saveexec_b64 s[10:11], vcc
	s_cbranch_execz .LBB9_6
; %bb.5:                                ;   in Loop: Header=BB9_4 Depth=1
	flat_load_dwordx4 v[8:11], v[15:16]
	s_waitcnt vmcnt(0) lgkmcnt(0)
	v_cmp_gt_f64_e32 vcc, 0, v[8:9]
	v_xor_b32_e32 v12, 0x80000000, v9
	v_xor_b32_e32 v13, 0x80000000, v11
	v_cndmask_b32_e32 v9, v9, v12, vcc
	v_cmp_gt_f64_e32 vcc, 0, v[10:11]
	v_cndmask_b32_e32 v11, v11, v13, vcc
	v_add_f64 v[9:10], v[8:9], v[10:11]
	v_add_co_u32_e32 v11, vcc, 1, v6
	v_addc_co_u32_e32 v12, vcc, 0, v7, vcc
.LBB9_6:                                ;   in Loop: Header=BB9_4 Depth=1
	s_or_b64 exec, exec, s[10:11]
	s_and_saveexec_b64 s[10:11], s[0:1]
; %bb.7:                                ;   in Loop: Header=BB9_4 Depth=1
	v_mov_b32_e32 v6, v5
	v_mov_b32_e32 v7, v5
	;; [unrolled: 1-line block ×3, first 2 shown]
	ds_write_b128 v21, v[5:8]
; %bb.8:                                ;   in Loop: Header=BB9_4 Depth=1
	s_or_b64 exec, exec, s[10:11]
	ds_bpermute_b32 v6, v22, v11
	ds_bpermute_b32 v7, v22, v12
	ds_bpermute_b32 v17, v22, v9
	ds_bpermute_b32 v18, v22, v10
	v_mov_b32_e32 v14, v10
	v_mov_b32_e32 v13, v9
	s_waitcnt lgkmcnt(2)
	v_cmp_ne_u64_e32 vcc, 0, v[6:7]
	s_waitcnt lgkmcnt(0)
	s_barrier
	s_and_saveexec_b64 s[12:13], vcc
	s_cbranch_execz .LBB9_12
; %bb.9:                                ;   in Loop: Header=BB9_4 Depth=1
	v_cmp_nlt_f64_e32 vcc, v[9:10], v[17:18]
	v_cmp_ne_u64_e64 s[10:11], 0, v[11:12]
	v_mov_b32_e32 v13, v17
	v_mov_b32_e32 v14, v18
	s_and_b64 s[10:11], s[10:11], vcc
	s_and_saveexec_b64 s[14:15], s[10:11]
	s_cbranch_execz .LBB9_11
; %bb.10:                               ;   in Loop: Header=BB9_4 Depth=1
	v_cmp_eq_f64_e64 s[10:11], v[9:10], v[17:18]
	v_cmp_lt_i64_e32 vcc, v[6:7], v[11:12]
	v_mov_b32_e32 v14, v10
	v_cndmask_b32_e32 v7, v12, v7, vcc
	v_mov_b32_e32 v13, v9
	v_mov_b32_e32 v17, v9
	;; [unrolled: 1-line block ×3, first 2 shown]
	s_and_b64 vcc, s[10:11], vcc
	v_cndmask_b32_e64 v7, v12, v7, s[10:11]
	v_cndmask_b32_e32 v6, v11, v6, vcc
.LBB9_11:                               ;   in Loop: Header=BB9_4 Depth=1
	s_or_b64 exec, exec, s[14:15]
	v_mov_b32_e32 v12, v7
	v_mov_b32_e32 v10, v18
	;; [unrolled: 1-line block ×4, first 2 shown]
.LBB9_12:                               ;   in Loop: Header=BB9_4 Depth=1
	s_or_b64 exec, exec, s[12:13]
	ds_bpermute_b32 v6, v23, v11
	ds_bpermute_b32 v7, v23, v12
	;; [unrolled: 1-line block ×4, first 2 shown]
	s_waitcnt lgkmcnt(2)
	v_cmp_ne_u64_e32 vcc, 0, v[6:7]
	s_and_saveexec_b64 s[12:13], vcc
	s_cbranch_execz .LBB9_16
; %bb.13:                               ;   in Loop: Header=BB9_4 Depth=1
	s_waitcnt lgkmcnt(0)
	v_cmp_nlt_f64_e32 vcc, v[13:14], v[17:18]
	v_cmp_ne_u64_e64 s[10:11], 0, v[11:12]
	v_mov_b32_e32 v20, v18
	v_mov_b32_e32 v19, v17
	s_and_b64 s[10:11], s[10:11], vcc
	s_and_saveexec_b64 s[14:15], s[10:11]
	s_cbranch_execz .LBB9_15
; %bb.14:                               ;   in Loop: Header=BB9_4 Depth=1
	v_cmp_eq_f64_e64 s[10:11], v[13:14], v[17:18]
	v_cmp_lt_i64_e32 vcc, v[6:7], v[11:12]
	v_mov_b32_e32 v20, v14
	v_cndmask_b32_e32 v7, v12, v7, vcc
	v_mov_b32_e32 v19, v13
	v_mov_b32_e32 v17, v9
	v_mov_b32_e32 v18, v10
	s_and_b64 vcc, s[10:11], vcc
	v_cndmask_b32_e64 v7, v12, v7, s[10:11]
	v_cndmask_b32_e32 v6, v11, v6, vcc
.LBB9_15:                               ;   in Loop: Header=BB9_4 Depth=1
	s_or_b64 exec, exec, s[14:15]
	v_mov_b32_e32 v12, v7
	v_mov_b32_e32 v13, v19
	v_mov_b32_e32 v10, v18
	v_mov_b32_e32 v9, v17
	v_mov_b32_e32 v11, v6
	v_mov_b32_e32 v14, v20
.LBB9_16:                               ;   in Loop: Header=BB9_4 Depth=1
	s_or_b64 exec, exec, s[12:13]
	ds_bpermute_b32 v6, v24, v11
	ds_bpermute_b32 v7, v24, v12
	s_waitcnt lgkmcnt(3)
	ds_bpermute_b32 v17, v24, v9
	s_waitcnt lgkmcnt(3)
	ds_bpermute_b32 v18, v24, v10
	s_waitcnt lgkmcnt(2)
	v_cmp_ne_u64_e32 vcc, 0, v[6:7]
	s_and_saveexec_b64 s[12:13], vcc
	s_cbranch_execz .LBB9_20
; %bb.17:                               ;   in Loop: Header=BB9_4 Depth=1
	s_waitcnt lgkmcnt(0)
	v_cmp_nlt_f64_e32 vcc, v[13:14], v[17:18]
	v_cmp_ne_u64_e64 s[10:11], 0, v[11:12]
	v_mov_b32_e32 v20, v18
	v_mov_b32_e32 v19, v17
	s_and_b64 s[10:11], s[10:11], vcc
	s_and_saveexec_b64 s[14:15], s[10:11]
	s_cbranch_execz .LBB9_19
; %bb.18:                               ;   in Loop: Header=BB9_4 Depth=1
	v_cmp_eq_f64_e64 s[10:11], v[13:14], v[17:18]
	v_cmp_lt_i64_e32 vcc, v[6:7], v[11:12]
	v_mov_b32_e32 v20, v14
	v_cndmask_b32_e32 v7, v12, v7, vcc
	v_mov_b32_e32 v19, v13
	v_mov_b32_e32 v17, v9
	v_mov_b32_e32 v18, v10
	s_and_b64 vcc, s[10:11], vcc
	v_cndmask_b32_e64 v7, v12, v7, s[10:11]
	v_cndmask_b32_e32 v6, v11, v6, vcc
.LBB9_19:                               ;   in Loop: Header=BB9_4 Depth=1
	s_or_b64 exec, exec, s[14:15]
	v_mov_b32_e32 v12, v7
	v_mov_b32_e32 v13, v19
	v_mov_b32_e32 v10, v18
	v_mov_b32_e32 v9, v17
	v_mov_b32_e32 v11, v6
	v_mov_b32_e32 v14, v20
.LBB9_20:                               ;   in Loop: Header=BB9_4 Depth=1
	s_or_b64 exec, exec, s[12:13]
	ds_bpermute_b32 v6, v25, v11
	ds_bpermute_b32 v7, v25, v12
	s_waitcnt lgkmcnt(3)
	ds_bpermute_b32 v17, v25, v9
	s_waitcnt lgkmcnt(3)
	ds_bpermute_b32 v18, v25, v10
	;; [unrolled: 40-line block ×3, first 2 shown]
	s_waitcnt lgkmcnt(2)
	v_cmp_ne_u64_e32 vcc, 0, v[6:7]
	s_and_saveexec_b64 s[12:13], vcc
	s_cbranch_execz .LBB9_28
; %bb.25:                               ;   in Loop: Header=BB9_4 Depth=1
	s_waitcnt lgkmcnt(0)
	v_cmp_nlt_f64_e32 vcc, v[13:14], v[17:18]
	v_cmp_ne_u64_e64 s[10:11], 0, v[11:12]
	v_mov_b32_e32 v20, v18
	v_mov_b32_e32 v19, v17
	s_and_b64 s[10:11], s[10:11], vcc
	s_and_saveexec_b64 s[14:15], s[10:11]
	s_cbranch_execz .LBB9_27
; %bb.26:                               ;   in Loop: Header=BB9_4 Depth=1
	v_cmp_eq_f64_e64 s[10:11], v[13:14], v[17:18]
	v_cmp_lt_i64_e32 vcc, v[6:7], v[11:12]
	v_mov_b32_e32 v20, v14
	v_cndmask_b32_e32 v7, v12, v7, vcc
	v_mov_b32_e32 v19, v13
	v_mov_b32_e32 v17, v9
	;; [unrolled: 1-line block ×3, first 2 shown]
	s_and_b64 vcc, s[10:11], vcc
	v_cndmask_b32_e64 v7, v12, v7, s[10:11]
	v_cndmask_b32_e32 v6, v11, v6, vcc
.LBB9_27:                               ;   in Loop: Header=BB9_4 Depth=1
	s_or_b64 exec, exec, s[14:15]
	v_mov_b32_e32 v12, v7
	v_mov_b32_e32 v13, v19
	;; [unrolled: 1-line block ×6, first 2 shown]
.LBB9_28:                               ;   in Loop: Header=BB9_4 Depth=1
	s_or_b64 exec, exec, s[12:13]
	ds_bpermute_b32 v6, v27, v11
	ds_bpermute_b32 v7, v27, v12
	ds_bpermute_b32 v8, v27, v9
	ds_bpermute_b32 v10, v27, v10
	s_waitcnt lgkmcnt(2)
	v_cmp_ne_u64_e32 vcc, 0, v[6:7]
	s_and_saveexec_b64 s[26:27], vcc
	s_cbranch_execz .LBB9_30
; %bb.29:                               ;   in Loop: Header=BB9_4 Depth=1
	s_waitcnt lgkmcnt(0)
	v_mov_b32_e32 v9, v10
	v_cmp_eq_f64_e32 vcc, v[13:14], v[8:9]
	v_cmp_lt_f64_e64 s[10:11], v[13:14], v[8:9]
	v_cmp_lt_i64_e64 s[12:13], v[6:7], v[11:12]
	v_cmp_eq_u64_e64 s[14:15], 0, v[11:12]
	s_and_b64 s[12:13], vcc, s[12:13]
	s_or_b64 vcc, s[14:15], s[10:11]
	s_or_b64 s[10:11], vcc, s[12:13]
	v_cndmask_b32_e32 v14, v14, v10, vcc
	v_cndmask_b32_e64 v12, v12, v7, s[10:11]
	v_cndmask_b32_e64 v11, v11, v6, s[10:11]
	v_cndmask_b32_e32 v13, v13, v8, vcc
.LBB9_30:                               ;   in Loop: Header=BB9_4 Depth=1
	s_or_b64 exec, exec, s[26:27]
	s_and_saveexec_b64 s[10:11], s[2:3]
; %bb.31:                               ;   in Loop: Header=BB9_4 Depth=1
	ds_write_b128 v29, v[11:14]
; %bb.32:                               ;   in Loop: Header=BB9_4 Depth=1
	s_or_b64 exec, exec, s[10:11]
	s_waitcnt lgkmcnt(0)
	v_mov_b32_e32 v9, 0
	v_mov_b32_e32 v7, 0
	;; [unrolled: 1-line block ×4, first 2 shown]
	s_barrier
	s_and_saveexec_b64 s[10:11], s[8:9]
; %bb.33:                               ;   in Loop: Header=BB9_4 Depth=1
	ds_read_b128 v[7:10], v21
; %bb.34:                               ;   in Loop: Header=BB9_4 Depth=1
	s_or_b64 exec, exec, s[10:11]
	s_and_saveexec_b64 s[26:27], s[0:1]
	s_cbranch_execz .LBB9_50
; %bb.35:                               ;   in Loop: Header=BB9_4 Depth=1
	s_waitcnt lgkmcnt(0)
	ds_bpermute_b32 v13, v24, v7
	ds_bpermute_b32 v14, v24, v8
	;; [unrolled: 1-line block ×4, first 2 shown]
	v_mov_b32_e32 v12, v10
	v_mov_b32_e32 v11, v9
	s_waitcnt lgkmcnt(2)
	v_cmp_ne_u64_e32 vcc, 0, v[13:14]
	s_and_saveexec_b64 s[12:13], vcc
	s_cbranch_execz .LBB9_39
; %bb.36:                               ;   in Loop: Header=BB9_4 Depth=1
	s_waitcnt lgkmcnt(0)
	v_cmp_nlt_f64_e32 vcc, v[9:10], v[17:18]
	v_cmp_ne_u64_e64 s[10:11], 0, v[7:8]
	v_mov_b32_e32 v11, v17
	v_mov_b32_e32 v12, v18
	s_and_b64 s[10:11], s[10:11], vcc
	s_and_saveexec_b64 s[14:15], s[10:11]
	s_cbranch_execz .LBB9_38
; %bb.37:                               ;   in Loop: Header=BB9_4 Depth=1
	v_cmp_eq_f64_e64 s[10:11], v[9:10], v[17:18]
	v_cmp_lt_i64_e32 vcc, v[13:14], v[7:8]
	v_mov_b32_e32 v12, v10
	v_cndmask_b32_e32 v6, v8, v14, vcc
	v_mov_b32_e32 v11, v9
	v_mov_b32_e32 v17, v9
	v_mov_b32_e32 v18, v10
	s_and_b64 vcc, s[10:11], vcc
	v_cndmask_b32_e64 v14, v8, v6, s[10:11]
	v_cndmask_b32_e32 v13, v7, v13, vcc
.LBB9_38:                               ;   in Loop: Header=BB9_4 Depth=1
	s_or_b64 exec, exec, s[14:15]
	v_mov_b32_e32 v7, v13
	v_mov_b32_e32 v10, v18
	;; [unrolled: 1-line block ×4, first 2 shown]
.LBB9_39:                               ;   in Loop: Header=BB9_4 Depth=1
	s_or_b64 exec, exec, s[12:13]
	ds_bpermute_b32 v13, v25, v7
	ds_bpermute_b32 v14, v25, v8
	s_waitcnt lgkmcnt(3)
	ds_bpermute_b32 v17, v25, v9
	s_waitcnt lgkmcnt(3)
	;; [unrolled: 2-line block ×3, first 2 shown]
	v_cmp_ne_u64_e32 vcc, 0, v[13:14]
	s_and_saveexec_b64 s[12:13], vcc
	s_cbranch_execz .LBB9_43
; %bb.40:                               ;   in Loop: Header=BB9_4 Depth=1
	s_waitcnt lgkmcnt(0)
	v_cmp_nlt_f64_e32 vcc, v[11:12], v[17:18]
	v_cmp_ne_u64_e64 s[10:11], 0, v[7:8]
	v_mov_b32_e32 v20, v18
	v_mov_b32_e32 v19, v17
	s_and_b64 s[10:11], s[10:11], vcc
	s_and_saveexec_b64 s[14:15], s[10:11]
	s_cbranch_execz .LBB9_42
; %bb.41:                               ;   in Loop: Header=BB9_4 Depth=1
	v_cmp_eq_f64_e64 s[10:11], v[11:12], v[17:18]
	v_cmp_lt_i64_e32 vcc, v[13:14], v[7:8]
	v_mov_b32_e32 v20, v12
	v_cndmask_b32_e32 v6, v8, v14, vcc
	v_mov_b32_e32 v19, v11
	v_mov_b32_e32 v17, v9
	;; [unrolled: 1-line block ×3, first 2 shown]
	s_and_b64 vcc, s[10:11], vcc
	v_cndmask_b32_e64 v14, v8, v6, s[10:11]
	v_cndmask_b32_e32 v13, v7, v13, vcc
.LBB9_42:                               ;   in Loop: Header=BB9_4 Depth=1
	s_or_b64 exec, exec, s[14:15]
	v_mov_b32_e32 v7, v13
	v_mov_b32_e32 v11, v19
	;; [unrolled: 1-line block ×6, first 2 shown]
.LBB9_43:                               ;   in Loop: Header=BB9_4 Depth=1
	s_or_b64 exec, exec, s[12:13]
	ds_bpermute_b32 v13, v26, v7
	ds_bpermute_b32 v14, v26, v8
	s_waitcnt lgkmcnt(3)
	ds_bpermute_b32 v17, v26, v9
	s_waitcnt lgkmcnt(3)
	;; [unrolled: 2-line block ×3, first 2 shown]
	v_cmp_ne_u64_e32 vcc, 0, v[13:14]
	s_and_saveexec_b64 s[12:13], vcc
	s_cbranch_execz .LBB9_47
; %bb.44:                               ;   in Loop: Header=BB9_4 Depth=1
	s_waitcnt lgkmcnt(0)
	v_cmp_nlt_f64_e32 vcc, v[11:12], v[17:18]
	v_cmp_ne_u64_e64 s[10:11], 0, v[7:8]
	v_mov_b32_e32 v20, v18
	v_mov_b32_e32 v19, v17
	s_and_b64 s[10:11], s[10:11], vcc
	s_and_saveexec_b64 s[14:15], s[10:11]
	s_cbranch_execz .LBB9_46
; %bb.45:                               ;   in Loop: Header=BB9_4 Depth=1
	v_cmp_eq_f64_e64 s[10:11], v[11:12], v[17:18]
	v_cmp_lt_i64_e32 vcc, v[13:14], v[7:8]
	v_mov_b32_e32 v20, v12
	v_cndmask_b32_e32 v6, v8, v14, vcc
	v_mov_b32_e32 v19, v11
	v_mov_b32_e32 v17, v9
	;; [unrolled: 1-line block ×3, first 2 shown]
	s_and_b64 vcc, s[10:11], vcc
	v_cndmask_b32_e64 v14, v8, v6, s[10:11]
	v_cndmask_b32_e32 v13, v7, v13, vcc
.LBB9_46:                               ;   in Loop: Header=BB9_4 Depth=1
	s_or_b64 exec, exec, s[14:15]
	v_mov_b32_e32 v7, v13
	v_mov_b32_e32 v11, v19
	;; [unrolled: 1-line block ×6, first 2 shown]
.LBB9_47:                               ;   in Loop: Header=BB9_4 Depth=1
	s_or_b64 exec, exec, s[12:13]
	ds_bpermute_b32 v13, v27, v7
	ds_bpermute_b32 v14, v27, v8
	;; [unrolled: 1-line block ×4, first 2 shown]
	s_waitcnt lgkmcnt(2)
	v_cmp_ne_u64_e32 vcc, 0, v[13:14]
	s_and_saveexec_b64 s[28:29], vcc
	s_cbranch_execz .LBB9_49
; %bb.48:                               ;   in Loop: Header=BB9_4 Depth=1
	s_waitcnt lgkmcnt(0)
	v_mov_b32_e32 v10, v6
	v_cmp_eq_f64_e32 vcc, v[11:12], v[9:10]
	v_cmp_lt_f64_e64 s[10:11], v[11:12], v[9:10]
	v_cmp_lt_i64_e64 s[12:13], v[13:14], v[7:8]
	v_cmp_eq_u64_e64 s[14:15], 0, v[7:8]
	s_and_b64 s[12:13], vcc, s[12:13]
	s_or_b64 vcc, s[14:15], s[10:11]
	s_or_b64 s[10:11], vcc, s[12:13]
	v_cndmask_b32_e32 v12, v12, v6, vcc
	v_cndmask_b32_e64 v8, v8, v14, s[10:11]
	v_cndmask_b32_e64 v7, v7, v13, s[10:11]
	v_cndmask_b32_e32 v11, v11, v9, vcc
.LBB9_49:                               ;   in Loop: Header=BB9_4 Depth=1
	s_or_b64 exec, exec, s[28:29]
	s_waitcnt lgkmcnt(1)
	v_mov_b32_e32 v9, v11
	v_mov_b32_e32 v10, v12
.LBB9_50:                               ;   in Loop: Header=BB9_4 Depth=1
	s_or_b64 exec, exec, s[26:27]
	s_waitcnt lgkmcnt(0)
	v_cmp_ne_u64_e32 vcc, 0, v[7:8]
	s_and_b64 s[10:11], s[22:23], vcc
	s_and_saveexec_b64 s[12:13], s[10:11]
	s_cbranch_execz .LBB9_3
; %bb.51:                               ;   in Loop: Header=BB9_4 Depth=1
	v_cmp_ngt_f64_e32 vcc, v[9:10], v[3:4]
	v_cmp_ne_u64_e64 s[10:11], 0, v[1:2]
	v_mov_b32_e32 v12, v10
	v_mov_b32_e32 v11, v9
	s_and_b64 s[10:11], s[10:11], vcc
	s_and_saveexec_b64 s[14:15], s[10:11]
	s_cbranch_execz .LBB9_2
; %bb.52:                               ;   in Loop: Header=BB9_4 Depth=1
	v_cmp_eq_f64_e64 s[10:11], v[3:4], v[9:10]
	v_cmp_lt_i64_e32 vcc, v[7:8], v[1:2]
	v_mov_b32_e32 v12, v4
	v_cndmask_b32_e32 v6, v2, v8, vcc
	v_mov_b32_e32 v11, v3
	s_and_b64 vcc, s[10:11], vcc
	v_cndmask_b32_e64 v8, v2, v6, s[10:11]
	v_cndmask_b32_e32 v7, v1, v7, vcc
	s_branch .LBB9_2
.LBB9_53:
	v_mov_b32_e32 v1, 0
	v_mov_b32_e32 v2, 0
.LBB9_54:
	s_mov_b32 s7, 0
	v_cmp_eq_u32_e32 vcc, 0, v0
	s_and_saveexec_b64 s[0:1], vcc
	s_cbranch_execz .LBB9_56
; %bb.55:
	s_load_dword s2, s[4:5], 0x30
	s_load_dwordx2 s[0:1], s[4:5], 0x28
	v_mov_b32_e32 v0, 0
	s_waitcnt lgkmcnt(0)
	s_mul_hi_u32 s3, s2, s24
	s_mul_i32 s2, s2, s24
	s_lshl_b64 s[2:3], s[2:3], 4
	s_add_u32 s2, s0, s2
	s_addc_u32 s3, s1, s3
	s_lshl_b64 s[0:1], s[6:7], 4
	s_add_u32 s0, s2, s0
	s_addc_u32 s1, s3, s1
	global_store_dwordx4 v0, v[1:4], s[0:1]
.LBB9_56:
	s_endpgm
	.section	.rodata,"a",@progbits
	.p2align	6, 0x0
	.amdhsa_kernel _ZL35rocblas_iamax_iamin_kernel_part1_64ILi1024E26rocblas_fetch_amax_amin_64IdE22rocblas_reduce_amax_64PKPK19rocblas_complex_numIdE24rocblas_index_64_value_tIdEEvlT2_lllPT3_
		.amdhsa_group_segment_fixed_size 1024
		.amdhsa_private_segment_fixed_size 0
		.amdhsa_kernarg_size 304
		.amdhsa_user_sgpr_count 6
		.amdhsa_user_sgpr_private_segment_buffer 1
		.amdhsa_user_sgpr_dispatch_ptr 0
		.amdhsa_user_sgpr_queue_ptr 0
		.amdhsa_user_sgpr_kernarg_segment_ptr 1
		.amdhsa_user_sgpr_dispatch_id 0
		.amdhsa_user_sgpr_flat_scratch_init 0
		.amdhsa_user_sgpr_private_segment_size 0
		.amdhsa_uses_dynamic_stack 0
		.amdhsa_system_sgpr_private_segment_wavefront_offset 0
		.amdhsa_system_sgpr_workgroup_id_x 1
		.amdhsa_system_sgpr_workgroup_id_y 0
		.amdhsa_system_sgpr_workgroup_id_z 1
		.amdhsa_system_sgpr_workgroup_info 0
		.amdhsa_system_vgpr_workitem_id 0
		.amdhsa_next_free_vgpr 30
		.amdhsa_next_free_sgpr 30
		.amdhsa_reserve_vcc 1
		.amdhsa_reserve_flat_scratch 0
		.amdhsa_float_round_mode_32 0
		.amdhsa_float_round_mode_16_64 0
		.amdhsa_float_denorm_mode_32 3
		.amdhsa_float_denorm_mode_16_64 3
		.amdhsa_dx10_clamp 1
		.amdhsa_ieee_mode 1
		.amdhsa_fp16_overflow 0
		.amdhsa_exception_fp_ieee_invalid_op 0
		.amdhsa_exception_fp_denorm_src 0
		.amdhsa_exception_fp_ieee_div_zero 0
		.amdhsa_exception_fp_ieee_overflow 0
		.amdhsa_exception_fp_ieee_underflow 0
		.amdhsa_exception_fp_ieee_inexact 0
		.amdhsa_exception_int_div_zero 0
	.end_amdhsa_kernel
	.section	.text._ZL35rocblas_iamax_iamin_kernel_part1_64ILi1024E26rocblas_fetch_amax_amin_64IdE22rocblas_reduce_amax_64PKPK19rocblas_complex_numIdE24rocblas_index_64_value_tIdEEvlT2_lllPT3_,"axG",@progbits,_ZL35rocblas_iamax_iamin_kernel_part1_64ILi1024E26rocblas_fetch_amax_amin_64IdE22rocblas_reduce_amax_64PKPK19rocblas_complex_numIdE24rocblas_index_64_value_tIdEEvlT2_lllPT3_,comdat
.Lfunc_end9:
	.size	_ZL35rocblas_iamax_iamin_kernel_part1_64ILi1024E26rocblas_fetch_amax_amin_64IdE22rocblas_reduce_amax_64PKPK19rocblas_complex_numIdE24rocblas_index_64_value_tIdEEvlT2_lllPT3_, .Lfunc_end9-_ZL35rocblas_iamax_iamin_kernel_part1_64ILi1024E26rocblas_fetch_amax_amin_64IdE22rocblas_reduce_amax_64PKPK19rocblas_complex_numIdE24rocblas_index_64_value_tIdEEvlT2_lllPT3_
                                        ; -- End function
	.set _ZL35rocblas_iamax_iamin_kernel_part1_64ILi1024E26rocblas_fetch_amax_amin_64IdE22rocblas_reduce_amax_64PKPK19rocblas_complex_numIdE24rocblas_index_64_value_tIdEEvlT2_lllPT3_.num_vgpr, 30
	.set _ZL35rocblas_iamax_iamin_kernel_part1_64ILi1024E26rocblas_fetch_amax_amin_64IdE22rocblas_reduce_amax_64PKPK19rocblas_complex_numIdE24rocblas_index_64_value_tIdEEvlT2_lllPT3_.num_agpr, 0
	.set _ZL35rocblas_iamax_iamin_kernel_part1_64ILi1024E26rocblas_fetch_amax_amin_64IdE22rocblas_reduce_amax_64PKPK19rocblas_complex_numIdE24rocblas_index_64_value_tIdEEvlT2_lllPT3_.numbered_sgpr, 30
	.set _ZL35rocblas_iamax_iamin_kernel_part1_64ILi1024E26rocblas_fetch_amax_amin_64IdE22rocblas_reduce_amax_64PKPK19rocblas_complex_numIdE24rocblas_index_64_value_tIdEEvlT2_lllPT3_.num_named_barrier, 0
	.set _ZL35rocblas_iamax_iamin_kernel_part1_64ILi1024E26rocblas_fetch_amax_amin_64IdE22rocblas_reduce_amax_64PKPK19rocblas_complex_numIdE24rocblas_index_64_value_tIdEEvlT2_lllPT3_.private_seg_size, 0
	.set _ZL35rocblas_iamax_iamin_kernel_part1_64ILi1024E26rocblas_fetch_amax_amin_64IdE22rocblas_reduce_amax_64PKPK19rocblas_complex_numIdE24rocblas_index_64_value_tIdEEvlT2_lllPT3_.uses_vcc, 1
	.set _ZL35rocblas_iamax_iamin_kernel_part1_64ILi1024E26rocblas_fetch_amax_amin_64IdE22rocblas_reduce_amax_64PKPK19rocblas_complex_numIdE24rocblas_index_64_value_tIdEEvlT2_lllPT3_.uses_flat_scratch, 0
	.set _ZL35rocblas_iamax_iamin_kernel_part1_64ILi1024E26rocblas_fetch_amax_amin_64IdE22rocblas_reduce_amax_64PKPK19rocblas_complex_numIdE24rocblas_index_64_value_tIdEEvlT2_lllPT3_.has_dyn_sized_stack, 0
	.set _ZL35rocblas_iamax_iamin_kernel_part1_64ILi1024E26rocblas_fetch_amax_amin_64IdE22rocblas_reduce_amax_64PKPK19rocblas_complex_numIdE24rocblas_index_64_value_tIdEEvlT2_lllPT3_.has_recursion, 0
	.set _ZL35rocblas_iamax_iamin_kernel_part1_64ILi1024E26rocblas_fetch_amax_amin_64IdE22rocblas_reduce_amax_64PKPK19rocblas_complex_numIdE24rocblas_index_64_value_tIdEEvlT2_lllPT3_.has_indirect_call, 0
	.section	.AMDGPU.csdata,"",@progbits
; Kernel info:
; codeLenInByte = 2424
; TotalNumSgprs: 34
; NumVgprs: 30
; ScratchSize: 0
; MemoryBound: 0
; FloatMode: 240
; IeeeMode: 1
; LDSByteSize: 1024 bytes/workgroup (compile time only)
; SGPRBlocks: 4
; VGPRBlocks: 7
; NumSGPRsForWavesPerEU: 34
; NumVGPRsForWavesPerEU: 30
; Occupancy: 8
; WaveLimiterHint : 0
; COMPUTE_PGM_RSRC2:SCRATCH_EN: 0
; COMPUTE_PGM_RSRC2:USER_SGPR: 6
; COMPUTE_PGM_RSRC2:TRAP_HANDLER: 0
; COMPUTE_PGM_RSRC2:TGID_X_EN: 1
; COMPUTE_PGM_RSRC2:TGID_Y_EN: 0
; COMPUTE_PGM_RSRC2:TGID_Z_EN: 1
; COMPUTE_PGM_RSRC2:TIDIG_COMP_CNT: 0
	.section	.text._ZL35rocblas_iamax_iamin_kernel_part1_64ILi1024E26rocblas_fetch_amax_amin_64IfE22rocblas_reduce_amin_64PKf24rocblas_index_64_value_tIfEEvlT2_lllPT3_,"axG",@progbits,_ZL35rocblas_iamax_iamin_kernel_part1_64ILi1024E26rocblas_fetch_amax_amin_64IfE22rocblas_reduce_amin_64PKf24rocblas_index_64_value_tIfEEvlT2_lllPT3_,comdat
	.globl	_ZL35rocblas_iamax_iamin_kernel_part1_64ILi1024E26rocblas_fetch_amax_amin_64IfE22rocblas_reduce_amin_64PKf24rocblas_index_64_value_tIfEEvlT2_lllPT3_ ; -- Begin function _ZL35rocblas_iamax_iamin_kernel_part1_64ILi1024E26rocblas_fetch_amax_amin_64IfE22rocblas_reduce_amin_64PKf24rocblas_index_64_value_tIfEEvlT2_lllPT3_
	.p2align	8
	.type	_ZL35rocblas_iamax_iamin_kernel_part1_64ILi1024E26rocblas_fetch_amax_amin_64IfE22rocblas_reduce_amin_64PKf24rocblas_index_64_value_tIfEEvlT2_lllPT3_,@function
_ZL35rocblas_iamax_iamin_kernel_part1_64ILi1024E26rocblas_fetch_amax_amin_64IfE22rocblas_reduce_amin_64PKf24rocblas_index_64_value_tIfEEvlT2_lllPT3_: ; @_ZL35rocblas_iamax_iamin_kernel_part1_64ILi1024E26rocblas_fetch_amax_amin_64IfE22rocblas_reduce_amin_64PKf24rocblas_index_64_value_tIfEEvlT2_lllPT3_
; %bb.0:
	s_load_dwordx8 s[20:27], s[4:5], 0x0
	s_load_dwordx4 s[16:19], s[4:5], 0x20
	s_mov_b32 s10, s7
	s_waitcnt lgkmcnt(0)
	v_cmp_lt_i64_e64 s[0:1], s[20:21], 1
	s_and_b64 vcc, exec, s[0:1]
	s_cbranch_vccnz .LBB10_53
; %bb.1:
	v_mbcnt_lo_u32_b32 v2, -1, 0
	v_mbcnt_hi_u32_b32 v2, -1, v2
	v_and_b32_e32 v3, 63, v2
	v_mov_b32_e32 v4, 0x80
	v_cmp_gt_u32_e32 vcc, 48, v3
	v_lshl_or_b32 v13, v2, 2, v4
	v_cndmask_b32_e64 v4, 0, 16, vcc
	v_cmp_gt_u32_e32 vcc, 56, v3
	v_add_lshl_u32 v14, v4, v2, 2
	v_cndmask_b32_e64 v4, 0, 8, vcc
	v_cmp_gt_u32_e32 vcc, 60, v3
	v_add_lshl_u32 v15, v4, v2, 2
	v_cndmask_b32_e64 v4, 0, 4, vcc
	v_cmp_gt_u32_e32 vcc, 62, v3
	v_and_b32_e32 v1, 63, v0
	v_add_lshl_u32 v16, v4, v2, 2
	v_cndmask_b32_e64 v4, 0, 2, vcc
	v_cmp_ne_u32_e32 vcc, 63, v3
	v_lshlrev_b32_e32 v12, 4, v1
	v_add_lshl_u32 v17, v4, v2, 2
	v_addc_co_u32_e32 v2, vcc, 0, v2, vcc
	v_cmp_eq_u32_e64 s[2:3], 0, v1
	v_lshrrev_b32_e32 v1, 2, v0
	v_lshl_or_b32 v20, s6, 10, v0
	v_lshlrev_b32_e32 v18, 2, v2
	s_load_dword s7, s[4:5], 0x30
	v_and_b32_e32 v19, 0xf0, v1
	v_mad_u64_u32 v[1:2], s[12:13], s26, v20, 0
	s_mul_i32 s11, s17, s10
	s_mul_hi_u32 s12, s16, s10
	s_add_i32 s13, s12, s11
	v_mad_u64_u32 v[2:3], s[14:15], s27, v20, v[2:3]
	s_mul_i32 s12, s16, s10
	s_waitcnt lgkmcnt(0)
	s_lshl_b32 s7, s7, 10
	s_lshl_b64 s[12:13], s[12:13], 2
	s_lshl_b64 s[14:15], s[24:25], 2
	s_add_u32 s11, s22, s14
	s_addc_u32 s14, s23, s15
	v_lshlrev_b64 v[1:2], 2, v[1:2]
	s_add_u32 s11, s11, s12
	s_addc_u32 s12, s14, s13
	v_mov_b32_e32 v3, s12
	v_add_co_u32_e64 v6, s[12:13], s11, v1
	v_addc_co_u32_e64 v7, s[12:13], v3, v2, s[12:13]
	s_mul_i32 s11, s27, s7
	s_mul_hi_u32 s12, s26, s7
	v_cmp_ne_u32_e32 vcc, 0, v0
	s_add_i32 s13, s12, s11
	s_mul_i32 s12, s26, s7
	v_mov_b32_e32 v1, 0
	v_cmp_gt_u32_e64 s[0:1], 64, v0
	v_cmp_gt_u32_e64 s[8:9], 16, v0
	v_mov_b32_e32 v4, 0
	s_lshl_b64 s[22:23], s[12:13], 2
	s_mov_b64 s[24:25], 0
	v_mov_b32_e32 v2, 0
	s_xor_b64 s[26:27], vcc, -1
                                        ; implicit-def: $vgpr21
	s_branch .LBB10_4
.LBB10_2:                               ;   in Loop: Header=BB10_4 Depth=1
	s_or_b64 exec, exec, s[16:17]
	v_mov_b32_e32 v1, v8
	v_mov_b32_e32 v2, v9
	;; [unrolled: 1-line block ×3, first 2 shown]
.LBB10_3:                               ;   in Loop: Header=BB10_4 Depth=1
	s_or_b64 exec, exec, s[14:15]
	s_add_u32 s24, s24, s7
	v_mov_b32_e32 v8, s20
	s_addc_u32 s25, s25, 0
	v_mov_b32_e32 v9, s21
	v_cmp_ge_i64_e32 vcc, s[24:25], v[8:9]
	v_mov_b32_e32 v5, s23
	v_add_co_u32_e64 v6, s[12:13], s22, v6
	v_addc_co_u32_e64 v7, s[12:13], v7, v5, s[12:13]
	s_cbranch_vccnz .LBB10_54
.LBB10_4:                               ; =>This Inner Loop Header: Depth=1
	v_mov_b32_e32 v5, s25
	v_add_co_u32_e32 v10, vcc, s24, v20
	v_addc_co_u32_e32 v11, vcc, 0, v5, vcc
	v_cmp_gt_i64_e32 vcc, s[20:21], v[10:11]
	v_mov_b32_e32 v8, 0
	v_mov_b32_e32 v9, 0
	s_and_saveexec_b64 s[12:13], vcc
	s_cbranch_execz .LBB10_6
; %bb.5:                                ;   in Loop: Header=BB10_4 Depth=1
	global_load_dword v5, v[6:7], off
	v_add_co_u32_e32 v8, vcc, 1, v10
	v_addc_co_u32_e32 v9, vcc, 0, v11, vcc
	s_waitcnt vmcnt(0)
	v_cmp_gt_f32_e32 vcc, 0, v5
	s_waitcnt lgkmcnt(0)
	v_cndmask_b32_e64 v21, v5, -v5, vcc
.LBB10_6:                               ;   in Loop: Header=BB10_4 Depth=1
	s_or_b64 exec, exec, s[12:13]
	s_and_saveexec_b64 s[12:13], s[0:1]
	s_cbranch_execz .LBB10_8
; %bb.7:                                ;   in Loop: Header=BB10_4 Depth=1
	v_mov_b32_e32 v5, v4
	ds_write_b64 v12, v[4:5]
	ds_write_b32 v12, v4 offset:8
.LBB10_8:                               ;   in Loop: Header=BB10_4 Depth=1
	s_or_b64 exec, exec, s[12:13]
	ds_bpermute_b32 v10, v13, v8
	ds_bpermute_b32 v11, v13, v9
	s_waitcnt lgkmcnt(2)
	ds_bpermute_b32 v22, v13, v21
	v_mov_b32_e32 v5, v21
	s_waitcnt lgkmcnt(0)
	s_barrier
	v_cmp_ne_u64_e32 vcc, 0, v[10:11]
	s_and_saveexec_b64 s[14:15], vcc
	s_cbranch_execz .LBB10_12
; %bb.9:                                ;   in Loop: Header=BB10_4 Depth=1
	v_cmp_ne_u64_e32 vcc, 0, v[8:9]
	v_cmp_ngt_f32_e64 s[12:13], v21, v22
	s_and_b64 s[12:13], vcc, s[12:13]
	s_and_saveexec_b64 s[16:17], s[12:13]
; %bb.10:                               ;   in Loop: Header=BB10_4 Depth=1
	v_cmp_lt_i64_e32 vcc, v[10:11], v[8:9]
	v_cmp_eq_f32_e64 s[12:13], v21, v22
	v_cndmask_b32_e32 v5, v9, v11, vcc
	s_and_b64 vcc, s[12:13], vcc
	v_cndmask_b32_e64 v11, v9, v5, s[12:13]
	v_cndmask_b32_e32 v10, v8, v10, vcc
	v_mov_b32_e32 v22, v21
; %bb.11:                               ;   in Loop: Header=BB10_4 Depth=1
	s_or_b64 exec, exec, s[16:17]
	v_mov_b32_e32 v8, v10
	v_mov_b32_e32 v21, v22
	;; [unrolled: 1-line block ×4, first 2 shown]
.LBB10_12:                              ;   in Loop: Header=BB10_4 Depth=1
	s_or_b64 exec, exec, s[14:15]
	ds_bpermute_b32 v10, v14, v8
	ds_bpermute_b32 v11, v14, v9
	;; [unrolled: 1-line block ×3, first 2 shown]
	s_waitcnt lgkmcnt(1)
	v_cmp_ne_u64_e32 vcc, 0, v[10:11]
	s_and_saveexec_b64 s[14:15], vcc
	s_cbranch_execz .LBB10_16
; %bb.13:                               ;   in Loop: Header=BB10_4 Depth=1
	v_cmp_ne_u64_e32 vcc, 0, v[8:9]
	s_waitcnt lgkmcnt(0)
	v_cmp_ngt_f32_e64 s[12:13], v5, v22
	s_and_b64 s[12:13], vcc, s[12:13]
	v_mov_b32_e32 v23, v22
	s_and_saveexec_b64 s[16:17], s[12:13]
; %bb.14:                               ;   in Loop: Header=BB10_4 Depth=1
	v_cmp_lt_i64_e32 vcc, v[10:11], v[8:9]
	v_cmp_eq_f32_e64 s[12:13], v5, v22
	v_cndmask_b32_e32 v11, v9, v11, vcc
	s_and_b64 vcc, s[12:13], vcc
	v_cndmask_b32_e64 v11, v9, v11, s[12:13]
	v_cndmask_b32_e32 v10, v8, v10, vcc
	v_mov_b32_e32 v23, v5
	v_mov_b32_e32 v22, v21
; %bb.15:                               ;   in Loop: Header=BB10_4 Depth=1
	s_or_b64 exec, exec, s[16:17]
	v_mov_b32_e32 v8, v10
	v_mov_b32_e32 v21, v22
	v_mov_b32_e32 v9, v11
	v_mov_b32_e32 v5, v23
.LBB10_16:                              ;   in Loop: Header=BB10_4 Depth=1
	s_or_b64 exec, exec, s[14:15]
	ds_bpermute_b32 v10, v15, v8
	ds_bpermute_b32 v11, v15, v9
	s_waitcnt lgkmcnt(2)
	ds_bpermute_b32 v22, v15, v21
	s_waitcnt lgkmcnt(1)
	v_cmp_ne_u64_e32 vcc, 0, v[10:11]
	s_and_saveexec_b64 s[14:15], vcc
	s_cbranch_execz .LBB10_20
; %bb.17:                               ;   in Loop: Header=BB10_4 Depth=1
	v_cmp_ne_u64_e32 vcc, 0, v[8:9]
	s_waitcnt lgkmcnt(0)
	v_cmp_ngt_f32_e64 s[12:13], v5, v22
	s_and_b64 s[12:13], vcc, s[12:13]
	v_mov_b32_e32 v23, v22
	s_and_saveexec_b64 s[16:17], s[12:13]
; %bb.18:                               ;   in Loop: Header=BB10_4 Depth=1
	v_cmp_lt_i64_e32 vcc, v[10:11], v[8:9]
	v_cmp_eq_f32_e64 s[12:13], v5, v22
	v_cndmask_b32_e32 v11, v9, v11, vcc
	s_and_b64 vcc, s[12:13], vcc
	v_cndmask_b32_e64 v11, v9, v11, s[12:13]
	v_cndmask_b32_e32 v10, v8, v10, vcc
	v_mov_b32_e32 v23, v5
	v_mov_b32_e32 v22, v21
; %bb.19:                               ;   in Loop: Header=BB10_4 Depth=1
	s_or_b64 exec, exec, s[16:17]
	v_mov_b32_e32 v8, v10
	v_mov_b32_e32 v21, v22
	v_mov_b32_e32 v9, v11
	v_mov_b32_e32 v5, v23
.LBB10_20:                              ;   in Loop: Header=BB10_4 Depth=1
	s_or_b64 exec, exec, s[14:15]
	ds_bpermute_b32 v10, v16, v8
	ds_bpermute_b32 v11, v16, v9
	s_waitcnt lgkmcnt(2)
	ds_bpermute_b32 v22, v16, v21
	;; [unrolled: 32-line block ×3, first 2 shown]
	s_waitcnt lgkmcnt(1)
	v_cmp_ne_u64_e32 vcc, 0, v[10:11]
	s_and_saveexec_b64 s[14:15], vcc
	s_cbranch_execz .LBB10_28
; %bb.25:                               ;   in Loop: Header=BB10_4 Depth=1
	v_cmp_ne_u64_e32 vcc, 0, v[8:9]
	s_waitcnt lgkmcnt(0)
	v_cmp_ngt_f32_e64 s[12:13], v5, v22
	s_and_b64 s[12:13], vcc, s[12:13]
	v_mov_b32_e32 v23, v22
	s_and_saveexec_b64 s[16:17], s[12:13]
; %bb.26:                               ;   in Loop: Header=BB10_4 Depth=1
	v_cmp_lt_i64_e32 vcc, v[10:11], v[8:9]
	v_cmp_eq_f32_e64 s[12:13], v5, v22
	v_cndmask_b32_e32 v11, v9, v11, vcc
	s_and_b64 vcc, s[12:13], vcc
	v_cndmask_b32_e64 v11, v9, v11, s[12:13]
	v_cndmask_b32_e32 v10, v8, v10, vcc
	v_mov_b32_e32 v23, v5
	v_mov_b32_e32 v22, v21
; %bb.27:                               ;   in Loop: Header=BB10_4 Depth=1
	s_or_b64 exec, exec, s[16:17]
	v_mov_b32_e32 v8, v10
	v_mov_b32_e32 v21, v22
	;; [unrolled: 1-line block ×4, first 2 shown]
.LBB10_28:                              ;   in Loop: Header=BB10_4 Depth=1
	s_or_b64 exec, exec, s[14:15]
	ds_bpermute_b32 v10, v18, v8
	ds_bpermute_b32 v11, v18, v9
	;; [unrolled: 1-line block ×3, first 2 shown]
	s_waitcnt lgkmcnt(1)
	v_cmp_ne_u64_e32 vcc, 0, v[10:11]
	s_and_saveexec_b64 s[28:29], vcc
	s_cbranch_execz .LBB10_30
; %bb.29:                               ;   in Loop: Header=BB10_4 Depth=1
	v_cmp_eq_u64_e32 vcc, 0, v[8:9]
	v_cmp_lt_i64_e64 s[14:15], v[10:11], v[8:9]
	s_waitcnt lgkmcnt(0)
	v_cmp_gt_f32_e64 s[12:13], v5, v21
	v_cmp_eq_f32_e64 s[16:17], v5, v21
	s_and_b64 s[14:15], s[16:17], s[14:15]
	s_or_b64 vcc, vcc, s[12:13]
	v_cndmask_b32_e64 v9, v9, v11, s[14:15]
	s_or_b64 s[12:13], vcc, s[14:15]
	v_cndmask_b32_e32 v9, v9, v11, vcc
	v_cndmask_b32_e64 v8, v8, v10, s[12:13]
	v_cndmask_b32_e32 v5, v5, v21, vcc
.LBB10_30:                              ;   in Loop: Header=BB10_4 Depth=1
	s_or_b64 exec, exec, s[28:29]
	s_and_saveexec_b64 s[12:13], s[2:3]
	s_cbranch_execz .LBB10_32
; %bb.31:                               ;   in Loop: Header=BB10_4 Depth=1
	ds_write_b64 v19, v[8:9]
	ds_write_b32 v19, v5 offset:8
.LBB10_32:                              ;   in Loop: Header=BB10_4 Depth=1
	s_or_b64 exec, exec, s[12:13]
	v_mov_b32_e32 v8, 0
	v_mov_b32_e32 v9, 0
	s_waitcnt lgkmcnt(0)
	v_mov_b32_e32 v21, 0
	s_barrier
	s_and_saveexec_b64 s[12:13], s[8:9]
	s_cbranch_execz .LBB10_34
; %bb.33:                               ;   in Loop: Header=BB10_4 Depth=1
	ds_read_b64 v[8:9], v12
	ds_read_b32 v21, v12 offset:8
.LBB10_34:                              ;   in Loop: Header=BB10_4 Depth=1
	s_or_b64 exec, exec, s[12:13]
	s_and_saveexec_b64 s[28:29], s[0:1]
	s_cbranch_execz .LBB10_50
; %bb.35:                               ;   in Loop: Header=BB10_4 Depth=1
	s_waitcnt lgkmcnt(1)
	ds_bpermute_b32 v10, v15, v8
	ds_bpermute_b32 v11, v15, v9
	s_waitcnt lgkmcnt(2)
	ds_bpermute_b32 v22, v15, v21
	v_mov_b32_e32 v5, v21
	s_waitcnt lgkmcnt(1)
	v_cmp_ne_u64_e32 vcc, 0, v[10:11]
	s_and_saveexec_b64 s[14:15], vcc
	s_cbranch_execz .LBB10_39
; %bb.36:                               ;   in Loop: Header=BB10_4 Depth=1
	v_cmp_ne_u64_e32 vcc, 0, v[8:9]
	s_waitcnt lgkmcnt(0)
	v_cmp_ngt_f32_e64 s[12:13], v21, v22
	s_and_b64 s[12:13], vcc, s[12:13]
	s_and_saveexec_b64 s[16:17], s[12:13]
; %bb.37:                               ;   in Loop: Header=BB10_4 Depth=1
	v_cmp_lt_i64_e32 vcc, v[10:11], v[8:9]
	v_cmp_eq_f32_e64 s[12:13], v21, v22
	v_cndmask_b32_e32 v5, v9, v11, vcc
	s_and_b64 vcc, s[12:13], vcc
	v_cndmask_b32_e64 v11, v9, v5, s[12:13]
	v_cndmask_b32_e32 v10, v8, v10, vcc
	v_mov_b32_e32 v22, v21
; %bb.38:                               ;   in Loop: Header=BB10_4 Depth=1
	s_or_b64 exec, exec, s[16:17]
	v_mov_b32_e32 v8, v10
	v_mov_b32_e32 v21, v22
	;; [unrolled: 1-line block ×4, first 2 shown]
.LBB10_39:                              ;   in Loop: Header=BB10_4 Depth=1
	s_or_b64 exec, exec, s[14:15]
	ds_bpermute_b32 v10, v16, v8
	ds_bpermute_b32 v11, v16, v9
	s_waitcnt lgkmcnt(2)
	ds_bpermute_b32 v22, v16, v21
	s_waitcnt lgkmcnt(1)
	v_cmp_ne_u64_e32 vcc, 0, v[10:11]
	s_and_saveexec_b64 s[14:15], vcc
	s_cbranch_execz .LBB10_43
; %bb.40:                               ;   in Loop: Header=BB10_4 Depth=1
	v_cmp_ne_u64_e32 vcc, 0, v[8:9]
	s_waitcnt lgkmcnt(0)
	v_cmp_ngt_f32_e64 s[12:13], v5, v22
	s_and_b64 s[12:13], vcc, s[12:13]
	v_mov_b32_e32 v23, v22
	s_and_saveexec_b64 s[16:17], s[12:13]
; %bb.41:                               ;   in Loop: Header=BB10_4 Depth=1
	v_cmp_lt_i64_e32 vcc, v[10:11], v[8:9]
	v_cmp_eq_f32_e64 s[12:13], v5, v22
	v_cndmask_b32_e32 v11, v9, v11, vcc
	s_and_b64 vcc, s[12:13], vcc
	v_cndmask_b32_e64 v11, v9, v11, s[12:13]
	v_cndmask_b32_e32 v10, v8, v10, vcc
	v_mov_b32_e32 v23, v5
	v_mov_b32_e32 v22, v21
; %bb.42:                               ;   in Loop: Header=BB10_4 Depth=1
	s_or_b64 exec, exec, s[16:17]
	v_mov_b32_e32 v8, v10
	v_mov_b32_e32 v21, v22
	;; [unrolled: 1-line block ×4, first 2 shown]
.LBB10_43:                              ;   in Loop: Header=BB10_4 Depth=1
	s_or_b64 exec, exec, s[14:15]
	ds_bpermute_b32 v10, v17, v8
	ds_bpermute_b32 v11, v17, v9
	s_waitcnt lgkmcnt(2)
	ds_bpermute_b32 v22, v17, v21
	s_waitcnt lgkmcnt(1)
	v_cmp_ne_u64_e32 vcc, 0, v[10:11]
	s_and_saveexec_b64 s[14:15], vcc
	s_cbranch_execz .LBB10_47
; %bb.44:                               ;   in Loop: Header=BB10_4 Depth=1
	v_cmp_ne_u64_e32 vcc, 0, v[8:9]
	s_waitcnt lgkmcnt(0)
	v_cmp_ngt_f32_e64 s[12:13], v5, v22
	s_and_b64 s[12:13], vcc, s[12:13]
	v_mov_b32_e32 v23, v22
	s_and_saveexec_b64 s[16:17], s[12:13]
; %bb.45:                               ;   in Loop: Header=BB10_4 Depth=1
	v_cmp_lt_i64_e32 vcc, v[10:11], v[8:9]
	v_cmp_eq_f32_e64 s[12:13], v5, v22
	v_cndmask_b32_e32 v11, v9, v11, vcc
	s_and_b64 vcc, s[12:13], vcc
	v_cndmask_b32_e64 v11, v9, v11, s[12:13]
	v_cndmask_b32_e32 v10, v8, v10, vcc
	v_mov_b32_e32 v23, v5
	v_mov_b32_e32 v22, v21
; %bb.46:                               ;   in Loop: Header=BB10_4 Depth=1
	s_or_b64 exec, exec, s[16:17]
	v_mov_b32_e32 v8, v10
	v_mov_b32_e32 v21, v22
	v_mov_b32_e32 v9, v11
	v_mov_b32_e32 v5, v23
.LBB10_47:                              ;   in Loop: Header=BB10_4 Depth=1
	s_or_b64 exec, exec, s[14:15]
	ds_bpermute_b32 v10, v18, v8
	ds_bpermute_b32 v11, v18, v9
	;; [unrolled: 1-line block ×3, first 2 shown]
	s_waitcnt lgkmcnt(1)
	v_cmp_ne_u64_e32 vcc, 0, v[10:11]
	s_and_saveexec_b64 s[30:31], vcc
	s_cbranch_execz .LBB10_49
; %bb.48:                               ;   in Loop: Header=BB10_4 Depth=1
	v_cmp_eq_u64_e32 vcc, 0, v[8:9]
	v_cmp_lt_i64_e64 s[14:15], v[10:11], v[8:9]
	s_waitcnt lgkmcnt(0)
	v_cmp_gt_f32_e64 s[12:13], v5, v21
	v_cmp_eq_f32_e64 s[16:17], v5, v21
	s_and_b64 s[14:15], s[16:17], s[14:15]
	s_or_b64 vcc, vcc, s[12:13]
	v_cndmask_b32_e64 v9, v9, v11, s[14:15]
	s_or_b64 s[12:13], vcc, s[14:15]
	v_cndmask_b32_e32 v9, v9, v11, vcc
	v_cndmask_b32_e64 v8, v8, v10, s[12:13]
	v_cndmask_b32_e32 v5, v5, v21, vcc
.LBB10_49:                              ;   in Loop: Header=BB10_4 Depth=1
	s_or_b64 exec, exec, s[30:31]
	s_waitcnt lgkmcnt(0)
	v_mov_b32_e32 v21, v5
.LBB10_50:                              ;   in Loop: Header=BB10_4 Depth=1
	s_or_b64 exec, exec, s[28:29]
	s_waitcnt lgkmcnt(1)
	v_cmp_ne_u64_e32 vcc, 0, v[8:9]
	s_and_b64 s[12:13], s[26:27], vcc
	s_and_saveexec_b64 s[14:15], s[12:13]
	s_cbranch_execz .LBB10_3
; %bb.51:                               ;   in Loop: Header=BB10_4 Depth=1
	v_cmp_ne_u64_e32 vcc, 0, v[1:2]
	s_waitcnt lgkmcnt(0)
	v_cmp_nlt_f32_e64 s[12:13], v21, v3
	s_and_b64 s[12:13], vcc, s[12:13]
	v_mov_b32_e32 v5, v21
	s_and_saveexec_b64 s[16:17], s[12:13]
	s_cbranch_execz .LBB10_2
; %bb.52:                               ;   in Loop: Header=BB10_4 Depth=1
	v_cmp_lt_i64_e32 vcc, v[8:9], v[1:2]
	v_cmp_eq_f32_e64 s[12:13], v3, v21
	v_cndmask_b32_e32 v5, v2, v9, vcc
	s_and_b64 vcc, s[12:13], vcc
	v_cndmask_b32_e64 v9, v2, v5, s[12:13]
	v_cndmask_b32_e32 v8, v1, v8, vcc
	v_mov_b32_e32 v5, v3
	s_branch .LBB10_2
.LBB10_53:
	v_mov_b32_e32 v1, 0
	v_mov_b32_e32 v2, 0
.LBB10_54:
	s_mov_b32 s7, 0
	v_cmp_eq_u32_e32 vcc, 0, v0
	s_and_saveexec_b64 s[0:1], vcc
	s_cbranch_execz .LBB10_56
; %bb.55:
	s_load_dword s0, s[4:5], 0x30
	v_mov_b32_e32 v0, 0
	s_waitcnt lgkmcnt(0)
	s_mul_hi_u32 s1, s0, s10
	s_mul_i32 s0, s0, s10
	s_lshl_b64 s[0:1], s[0:1], 4
	s_add_u32 s2, s18, s0
	s_addc_u32 s3, s19, s1
	s_lshl_b64 s[0:1], s[6:7], 4
	s_add_u32 s0, s2, s0
	s_addc_u32 s1, s3, s1
	global_store_dwordx3 v0, v[1:3], s[0:1]
.LBB10_56:
	s_endpgm
	.section	.rodata,"a",@progbits
	.p2align	6, 0x0
	.amdhsa_kernel _ZL35rocblas_iamax_iamin_kernel_part1_64ILi1024E26rocblas_fetch_amax_amin_64IfE22rocblas_reduce_amin_64PKf24rocblas_index_64_value_tIfEEvlT2_lllPT3_
		.amdhsa_group_segment_fixed_size 1024
		.amdhsa_private_segment_fixed_size 0
		.amdhsa_kernarg_size 304
		.amdhsa_user_sgpr_count 6
		.amdhsa_user_sgpr_private_segment_buffer 1
		.amdhsa_user_sgpr_dispatch_ptr 0
		.amdhsa_user_sgpr_queue_ptr 0
		.amdhsa_user_sgpr_kernarg_segment_ptr 1
		.amdhsa_user_sgpr_dispatch_id 0
		.amdhsa_user_sgpr_flat_scratch_init 0
		.amdhsa_user_sgpr_private_segment_size 0
		.amdhsa_uses_dynamic_stack 0
		.amdhsa_system_sgpr_private_segment_wavefront_offset 0
		.amdhsa_system_sgpr_workgroup_id_x 1
		.amdhsa_system_sgpr_workgroup_id_y 0
		.amdhsa_system_sgpr_workgroup_id_z 1
		.amdhsa_system_sgpr_workgroup_info 0
		.amdhsa_system_vgpr_workitem_id 0
		.amdhsa_next_free_vgpr 24
		.amdhsa_next_free_sgpr 32
		.amdhsa_reserve_vcc 1
		.amdhsa_reserve_flat_scratch 0
		.amdhsa_float_round_mode_32 0
		.amdhsa_float_round_mode_16_64 0
		.amdhsa_float_denorm_mode_32 3
		.amdhsa_float_denorm_mode_16_64 3
		.amdhsa_dx10_clamp 1
		.amdhsa_ieee_mode 1
		.amdhsa_fp16_overflow 0
		.amdhsa_exception_fp_ieee_invalid_op 0
		.amdhsa_exception_fp_denorm_src 0
		.amdhsa_exception_fp_ieee_div_zero 0
		.amdhsa_exception_fp_ieee_overflow 0
		.amdhsa_exception_fp_ieee_underflow 0
		.amdhsa_exception_fp_ieee_inexact 0
		.amdhsa_exception_int_div_zero 0
	.end_amdhsa_kernel
	.section	.text._ZL35rocblas_iamax_iamin_kernel_part1_64ILi1024E26rocblas_fetch_amax_amin_64IfE22rocblas_reduce_amin_64PKf24rocblas_index_64_value_tIfEEvlT2_lllPT3_,"axG",@progbits,_ZL35rocblas_iamax_iamin_kernel_part1_64ILi1024E26rocblas_fetch_amax_amin_64IfE22rocblas_reduce_amin_64PKf24rocblas_index_64_value_tIfEEvlT2_lllPT3_,comdat
.Lfunc_end10:
	.size	_ZL35rocblas_iamax_iamin_kernel_part1_64ILi1024E26rocblas_fetch_amax_amin_64IfE22rocblas_reduce_amin_64PKf24rocblas_index_64_value_tIfEEvlT2_lllPT3_, .Lfunc_end10-_ZL35rocblas_iamax_iamin_kernel_part1_64ILi1024E26rocblas_fetch_amax_amin_64IfE22rocblas_reduce_amin_64PKf24rocblas_index_64_value_tIfEEvlT2_lllPT3_
                                        ; -- End function
	.set _ZL35rocblas_iamax_iamin_kernel_part1_64ILi1024E26rocblas_fetch_amax_amin_64IfE22rocblas_reduce_amin_64PKf24rocblas_index_64_value_tIfEEvlT2_lllPT3_.num_vgpr, 24
	.set _ZL35rocblas_iamax_iamin_kernel_part1_64ILi1024E26rocblas_fetch_amax_amin_64IfE22rocblas_reduce_amin_64PKf24rocblas_index_64_value_tIfEEvlT2_lllPT3_.num_agpr, 0
	.set _ZL35rocblas_iamax_iamin_kernel_part1_64ILi1024E26rocblas_fetch_amax_amin_64IfE22rocblas_reduce_amin_64PKf24rocblas_index_64_value_tIfEEvlT2_lllPT3_.numbered_sgpr, 32
	.set _ZL35rocblas_iamax_iamin_kernel_part1_64ILi1024E26rocblas_fetch_amax_amin_64IfE22rocblas_reduce_amin_64PKf24rocblas_index_64_value_tIfEEvlT2_lllPT3_.num_named_barrier, 0
	.set _ZL35rocblas_iamax_iamin_kernel_part1_64ILi1024E26rocblas_fetch_amax_amin_64IfE22rocblas_reduce_amin_64PKf24rocblas_index_64_value_tIfEEvlT2_lllPT3_.private_seg_size, 0
	.set _ZL35rocblas_iamax_iamin_kernel_part1_64ILi1024E26rocblas_fetch_amax_amin_64IfE22rocblas_reduce_amin_64PKf24rocblas_index_64_value_tIfEEvlT2_lllPT3_.uses_vcc, 1
	.set _ZL35rocblas_iamax_iamin_kernel_part1_64ILi1024E26rocblas_fetch_amax_amin_64IfE22rocblas_reduce_amin_64PKf24rocblas_index_64_value_tIfEEvlT2_lllPT3_.uses_flat_scratch, 0
	.set _ZL35rocblas_iamax_iamin_kernel_part1_64ILi1024E26rocblas_fetch_amax_amin_64IfE22rocblas_reduce_amin_64PKf24rocblas_index_64_value_tIfEEvlT2_lllPT3_.has_dyn_sized_stack, 0
	.set _ZL35rocblas_iamax_iamin_kernel_part1_64ILi1024E26rocblas_fetch_amax_amin_64IfE22rocblas_reduce_amin_64PKf24rocblas_index_64_value_tIfEEvlT2_lllPT3_.has_recursion, 0
	.set _ZL35rocblas_iamax_iamin_kernel_part1_64ILi1024E26rocblas_fetch_amax_amin_64IfE22rocblas_reduce_amin_64PKf24rocblas_index_64_value_tIfEEvlT2_lllPT3_.has_indirect_call, 0
	.section	.AMDGPU.csdata,"",@progbits
; Kernel info:
; codeLenInByte = 2112
; TotalNumSgprs: 36
; NumVgprs: 24
; ScratchSize: 0
; MemoryBound: 0
; FloatMode: 240
; IeeeMode: 1
; LDSByteSize: 1024 bytes/workgroup (compile time only)
; SGPRBlocks: 4
; VGPRBlocks: 5
; NumSGPRsForWavesPerEU: 36
; NumVGPRsForWavesPerEU: 24
; Occupancy: 10
; WaveLimiterHint : 0
; COMPUTE_PGM_RSRC2:SCRATCH_EN: 0
; COMPUTE_PGM_RSRC2:USER_SGPR: 6
; COMPUTE_PGM_RSRC2:TRAP_HANDLER: 0
; COMPUTE_PGM_RSRC2:TGID_X_EN: 1
; COMPUTE_PGM_RSRC2:TGID_Y_EN: 0
; COMPUTE_PGM_RSRC2:TGID_Z_EN: 1
; COMPUTE_PGM_RSRC2:TIDIG_COMP_CNT: 0
	.section	.text._ZL35rocblas_iamax_iamin_kernel_part2_64ILi1024E22rocblas_reduce_amin_6424rocblas_index_64_value_tIfElEviPT1_PT2_,"axG",@progbits,_ZL35rocblas_iamax_iamin_kernel_part2_64ILi1024E22rocblas_reduce_amin_6424rocblas_index_64_value_tIfElEviPT1_PT2_,comdat
	.globl	_ZL35rocblas_iamax_iamin_kernel_part2_64ILi1024E22rocblas_reduce_amin_6424rocblas_index_64_value_tIfElEviPT1_PT2_ ; -- Begin function _ZL35rocblas_iamax_iamin_kernel_part2_64ILi1024E22rocblas_reduce_amin_6424rocblas_index_64_value_tIfElEviPT1_PT2_
	.p2align	8
	.type	_ZL35rocblas_iamax_iamin_kernel_part2_64ILi1024E22rocblas_reduce_amin_6424rocblas_index_64_value_tIfElEviPT1_PT2_,@function
_ZL35rocblas_iamax_iamin_kernel_part2_64ILi1024E22rocblas_reduce_amin_6424rocblas_index_64_value_tIfElEviPT1_PT2_: ; @_ZL35rocblas_iamax_iamin_kernel_part2_64ILi1024E22rocblas_reduce_amin_6424rocblas_index_64_value_tIfElEviPT1_PT2_
; %bb.0:
	s_load_dword s7, s[4:5], 0x0
	s_load_dwordx4 s[8:11], s[4:5], 0x8
	v_mov_b32_e32 v1, 0
	v_mov_b32_e32 v2, 0
	s_waitcnt lgkmcnt(0)
	v_cmp_gt_i32_e32 vcc, s7, v0
	s_and_saveexec_b64 s[2:3], vcc
	s_cbranch_execz .LBB11_10
; %bb.1:
	s_mul_hi_u32 s1, s7, s6
	s_mul_i32 s0, s7, s6
	s_lshl_b64 s[0:1], s[0:1], 4
	s_add_u32 s4, s8, s0
	s_addc_u32 s5, s9, s1
	v_lshlrev_b32_e32 v4, 4, v0
	global_load_dwordx3 v[1:3], v4, s[4:5]
	v_or_b32_e32 v8, 0x400, v0
	v_cmp_gt_u32_e32 vcc, s7, v8
	s_and_saveexec_b64 s[4:5], vcc
	s_cbranch_execz .LBB11_9
; %bb.2:
	s_add_u32 s0, s8, s0
	s_addc_u32 s1, s9, s1
	v_mov_b32_e32 v5, s1
	v_add_co_u32_e32 v4, vcc, s0, v4
	v_addc_co_u32_e32 v5, vcc, 0, v5, vcc
	v_add_co_u32_e32 v4, vcc, 0x4008, v4
	v_addc_co_u32_e32 v5, vcc, 0, v5, vcc
	s_mov_b64 s[8:9], 0
	s_branch .LBB11_5
.LBB11_3:                               ;   in Loop: Header=BB11_5 Depth=1
	s_or_b64 exec, exec, s[14:15]
	v_mov_b32_e32 v1, v6
	v_mov_b32_e32 v2, v7
	;; [unrolled: 1-line block ×3, first 2 shown]
.LBB11_4:                               ;   in Loop: Header=BB11_5 Depth=1
	s_or_b64 exec, exec, s[12:13]
	v_add_u32_e32 v8, 0x400, v8
	v_add_co_u32_e32 v4, vcc, 0x4000, v4
	v_cmp_le_i32_e64 s[0:1], s7, v8
	s_or_b64 s[8:9], s[0:1], s[8:9]
	v_addc_co_u32_e32 v5, vcc, 0, v5, vcc
	s_andn2_b64 exec, exec, s[8:9]
	s_cbranch_execz .LBB11_8
.LBB11_5:                               ; =>This Inner Loop Header: Depth=1
	global_load_dwordx2 v[6:7], v[4:5], off offset:-8
	s_waitcnt vmcnt(0)
	v_cmp_ne_u64_e32 vcc, 0, v[6:7]
	s_and_saveexec_b64 s[12:13], vcc
	s_cbranch_execz .LBB11_4
; %bb.6:                                ;   in Loop: Header=BB11_5 Depth=1
	global_load_dword v9, v[4:5], off
	v_cmp_ne_u64_e32 vcc, 0, v[1:2]
	s_waitcnt vmcnt(0)
	v_cmp_nlt_f32_e64 s[0:1], v9, v3
	s_and_b64 s[0:1], vcc, s[0:1]
	s_and_saveexec_b64 s[14:15], s[0:1]
	s_cbranch_execz .LBB11_3
; %bb.7:                                ;   in Loop: Header=BB11_5 Depth=1
	v_cmp_lt_i64_e32 vcc, v[6:7], v[1:2]
	v_cmp_eq_f32_e64 s[0:1], v3, v9
	v_cndmask_b32_e32 v7, v2, v7, vcc
	s_and_b64 vcc, s[0:1], vcc
	v_cndmask_b32_e64 v7, v2, v7, s[0:1]
	v_cndmask_b32_e32 v6, v1, v6, vcc
	v_mov_b32_e32 v9, v3
	s_branch .LBB11_3
.LBB11_8:
	s_or_b64 exec, exec, s[8:9]
.LBB11_9:
	s_or_b64 exec, exec, s[4:5]
.LBB11_10:
	s_or_b64 exec, exec, s[2:3]
	v_and_b32_e32 v7, 63, v0
	v_cmp_gt_u32_e32 vcc, 64, v0
	v_lshlrev_b32_e32 v6, 4, v7
	s_and_saveexec_b64 s[0:1], vcc
	s_cbranch_execz .LBB11_12
; %bb.11:
	v_mov_b32_e32 v4, 0
	v_mov_b32_e32 v5, v4
	ds_write_b64 v6, v[4:5]
	ds_write_b32 v6, v4 offset:8
.LBB11_12:
	s_or_b64 exec, exec, s[0:1]
	v_mbcnt_lo_u32_b32 v4, -1, 0
	v_mbcnt_hi_u32_b32 v8, -1, v4
	v_mov_b32_e32 v4, 0x80
	v_lshl_or_b32 v9, v8, 2, v4
	s_waitcnt vmcnt(0)
	ds_bpermute_b32 v4, v9, v1
	ds_bpermute_b32 v5, v9, v2
	;; [unrolled: 1-line block ×3, first 2 shown]
	v_mov_b32_e32 v9, v3
	s_waitcnt lgkmcnt(0)
	s_barrier
	v_cmp_ne_u64_e64 s[0:1], 0, v[4:5]
	s_and_saveexec_b64 s[4:5], s[0:1]
	s_cbranch_execz .LBB11_16
; %bb.13:
	v_cmp_ne_u64_e64 s[0:1], 0, v[1:2]
	v_cmp_ngt_f32_e64 s[2:3], v3, v10
	s_and_b64 s[0:1], s[0:1], s[2:3]
	v_mov_b32_e32 v9, v10
	s_and_saveexec_b64 s[8:9], s[0:1]
; %bb.14:
	v_cmp_lt_i64_e64 s[0:1], v[4:5], v[1:2]
	v_cmp_eq_f32_e64 s[2:3], v3, v10
	v_cndmask_b32_e64 v5, v2, v5, s[0:1]
	s_and_b64 s[0:1], s[2:3], s[0:1]
	v_cndmask_b32_e64 v5, v2, v5, s[2:3]
	v_cndmask_b32_e64 v4, v1, v4, s[0:1]
	v_mov_b32_e32 v9, v3
	v_mov_b32_e32 v10, v3
; %bb.15:
	s_or_b64 exec, exec, s[8:9]
	v_mov_b32_e32 v1, v4
	v_mov_b32_e32 v3, v10
	;; [unrolled: 1-line block ×3, first 2 shown]
.LBB11_16:
	s_or_b64 exec, exec, s[4:5]
	v_and_b32_e32 v13, 63, v8
	v_cmp_gt_u32_e64 s[0:1], 48, v13
	v_cndmask_b32_e64 v4, 0, 16, s[0:1]
	v_add_lshl_u32 v10, v4, v8, 2
	ds_bpermute_b32 v4, v10, v1
	ds_bpermute_b32 v5, v10, v2
	ds_bpermute_b32 v10, v10, v3
	s_waitcnt lgkmcnt(1)
	v_cmp_ne_u64_e64 s[0:1], 0, v[4:5]
	s_and_saveexec_b64 s[4:5], s[0:1]
	s_cbranch_execz .LBB11_20
; %bb.17:
	v_cmp_ne_u64_e64 s[0:1], 0, v[1:2]
	s_waitcnt lgkmcnt(0)
	v_cmp_ngt_f32_e64 s[2:3], v9, v10
	s_and_b64 s[0:1], s[0:1], s[2:3]
	v_mov_b32_e32 v11, v10
	s_and_saveexec_b64 s[8:9], s[0:1]
; %bb.18:
	v_cmp_lt_i64_e64 s[0:1], v[4:5], v[1:2]
	v_cmp_eq_f32_e64 s[2:3], v9, v10
	v_cndmask_b32_e64 v5, v2, v5, s[0:1]
	s_and_b64 s[0:1], s[2:3], s[0:1]
	v_cndmask_b32_e64 v5, v2, v5, s[2:3]
	v_cndmask_b32_e64 v4, v1, v4, s[0:1]
	v_mov_b32_e32 v11, v9
	v_mov_b32_e32 v10, v3
; %bb.19:
	s_or_b64 exec, exec, s[8:9]
	v_mov_b32_e32 v1, v4
	v_mov_b32_e32 v3, v10
	v_mov_b32_e32 v2, v5
	v_mov_b32_e32 v9, v11
.LBB11_20:
	s_or_b64 exec, exec, s[4:5]
	v_cmp_gt_u32_e64 s[0:1], 56, v13
	v_cndmask_b32_e64 v4, 0, 8, s[0:1]
	s_waitcnt lgkmcnt(0)
	v_add_lshl_u32 v10, v4, v8, 2
	ds_bpermute_b32 v4, v10, v1
	ds_bpermute_b32 v5, v10, v2
	ds_bpermute_b32 v11, v10, v3
	s_waitcnt lgkmcnt(1)
	v_cmp_ne_u64_e64 s[0:1], 0, v[4:5]
	s_and_saveexec_b64 s[4:5], s[0:1]
	s_cbranch_execz .LBB11_24
; %bb.21:
	v_cmp_ne_u64_e64 s[0:1], 0, v[1:2]
	s_waitcnt lgkmcnt(0)
	v_cmp_ngt_f32_e64 s[2:3], v9, v11
	s_and_b64 s[0:1], s[0:1], s[2:3]
	v_mov_b32_e32 v12, v11
	s_and_saveexec_b64 s[8:9], s[0:1]
; %bb.22:
	v_cmp_lt_i64_e64 s[0:1], v[4:5], v[1:2]
	v_cmp_eq_f32_e64 s[2:3], v9, v11
	v_cndmask_b32_e64 v5, v2, v5, s[0:1]
	s_and_b64 s[0:1], s[2:3], s[0:1]
	v_cndmask_b32_e64 v5, v2, v5, s[2:3]
	v_cndmask_b32_e64 v4, v1, v4, s[0:1]
	v_mov_b32_e32 v12, v9
	v_mov_b32_e32 v11, v3
; %bb.23:
	s_or_b64 exec, exec, s[8:9]
	v_mov_b32_e32 v1, v4
	v_mov_b32_e32 v3, v11
	v_mov_b32_e32 v2, v5
	v_mov_b32_e32 v9, v12
.LBB11_24:
	s_or_b64 exec, exec, s[4:5]
	v_cmp_gt_u32_e64 s[0:1], 60, v13
	v_cndmask_b32_e64 v4, 0, 4, s[0:1]
	s_waitcnt lgkmcnt(0)
	;; [unrolled: 35-line block ×3, first 2 shown]
	v_add_lshl_u32 v12, v4, v8, 2
	ds_bpermute_b32 v4, v12, v1
	ds_bpermute_b32 v5, v12, v2
	;; [unrolled: 1-line block ×3, first 2 shown]
	s_waitcnt lgkmcnt(1)
	v_cmp_ne_u64_e64 s[0:1], 0, v[4:5]
	s_and_saveexec_b64 s[4:5], s[0:1]
	s_cbranch_execz .LBB11_32
; %bb.29:
	v_cmp_ne_u64_e64 s[0:1], 0, v[1:2]
	s_waitcnt lgkmcnt(0)
	v_cmp_ngt_f32_e64 s[2:3], v9, v14
	s_and_b64 s[0:1], s[0:1], s[2:3]
	v_mov_b32_e32 v15, v14
	s_and_saveexec_b64 s[8:9], s[0:1]
; %bb.30:
	v_cmp_lt_i64_e64 s[0:1], v[4:5], v[1:2]
	v_cmp_eq_f32_e64 s[2:3], v9, v14
	v_cndmask_b32_e64 v5, v2, v5, s[0:1]
	s_and_b64 s[0:1], s[2:3], s[0:1]
	v_cndmask_b32_e64 v5, v2, v5, s[2:3]
	v_cndmask_b32_e64 v4, v1, v4, s[0:1]
	v_mov_b32_e32 v15, v9
	v_mov_b32_e32 v14, v3
; %bb.31:
	s_or_b64 exec, exec, s[8:9]
	v_mov_b32_e32 v1, v4
	v_mov_b32_e32 v3, v14
	;; [unrolled: 1-line block ×4, first 2 shown]
.LBB11_32:
	s_or_b64 exec, exec, s[4:5]
	v_cmp_ne_u32_e64 s[0:1], 63, v13
	v_addc_co_u32_e64 v4, s[0:1], 0, v8, s[0:1]
	v_lshlrev_b32_e32 v8, 2, v4
	ds_bpermute_b32 v4, v8, v1
	ds_bpermute_b32 v5, v8, v2
	;; [unrolled: 1-line block ×3, first 2 shown]
	s_waitcnt lgkmcnt(1)
	v_cmp_ne_u64_e64 s[0:1], 0, v[4:5]
	s_and_saveexec_b64 s[12:13], s[0:1]
	s_cbranch_execz .LBB11_34
; %bb.33:
	v_cmp_eq_u64_e64 s[0:1], 0, v[1:2]
	v_cmp_lt_i64_e64 s[4:5], v[4:5], v[1:2]
	s_waitcnt lgkmcnt(0)
	v_cmp_gt_f32_e64 s[2:3], v9, v3
	v_cmp_eq_f32_e64 s[8:9], v9, v3
	s_and_b64 s[4:5], s[8:9], s[4:5]
	s_or_b64 s[0:1], s[0:1], s[2:3]
	v_cndmask_b32_e64 v2, v2, v5, s[4:5]
	s_or_b64 s[2:3], s[0:1], s[4:5]
	v_cndmask_b32_e64 v2, v2, v5, s[0:1]
	v_cndmask_b32_e64 v1, v1, v4, s[2:3]
	;; [unrolled: 1-line block ×3, first 2 shown]
.LBB11_34:
	s_or_b64 exec, exec, s[12:13]
	v_cmp_eq_u32_e64 s[0:1], 0, v7
	s_and_saveexec_b64 s[2:3], s[0:1]
	s_cbranch_execz .LBB11_36
; %bb.35:
	s_waitcnt lgkmcnt(0)
	v_lshrrev_b32_e32 v3, 2, v0
	v_and_b32_e32 v3, 0xf0, v3
	ds_write_b64 v3, v[1:2]
	ds_write_b32 v3, v9 offset:8
.LBB11_36:
	s_or_b64 exec, exec, s[2:3]
	v_mov_b32_e32 v1, 0
	v_cmp_gt_u32_e64 s[0:1], 16, v0
	v_mov_b32_e32 v2, 0
	v_mov_b32_e32 v5, 0
	s_waitcnt lgkmcnt(0)
	s_barrier
	s_and_saveexec_b64 s[2:3], s[0:1]
	s_cbranch_execz .LBB11_38
; %bb.37:
	ds_read_b64 v[1:2], v6
	ds_read_b32 v5, v6 offset:8
.LBB11_38:
	s_or_b64 exec, exec, s[2:3]
	s_and_saveexec_b64 s[8:9], vcc
	s_cbranch_execz .LBB11_54
; %bb.39:
	s_waitcnt lgkmcnt(1)
	ds_bpermute_b32 v3, v10, v1
	ds_bpermute_b32 v4, v10, v2
	s_waitcnt lgkmcnt(2)
	ds_bpermute_b32 v7, v10, v5
	v_mov_b32_e32 v6, v5
	s_waitcnt lgkmcnt(1)
	v_cmp_ne_u64_e32 vcc, 0, v[3:4]
	s_and_saveexec_b64 s[2:3], vcc
	s_cbranch_execz .LBB11_43
; %bb.40:
	v_cmp_ne_u64_e32 vcc, 0, v[1:2]
	s_waitcnt lgkmcnt(0)
	v_cmp_ngt_f32_e64 s[0:1], v5, v7
	s_and_b64 s[0:1], vcc, s[0:1]
	s_and_saveexec_b64 s[4:5], s[0:1]
; %bb.41:
	v_cmp_lt_i64_e32 vcc, v[3:4], v[1:2]
	v_cmp_eq_f32_e64 s[0:1], v5, v7
	v_cndmask_b32_e32 v4, v2, v4, vcc
	s_and_b64 vcc, s[0:1], vcc
	v_cndmask_b32_e64 v4, v2, v4, s[0:1]
	v_cndmask_b32_e32 v3, v1, v3, vcc
	v_mov_b32_e32 v7, v5
; %bb.42:
	s_or_b64 exec, exec, s[4:5]
	v_mov_b32_e32 v1, v3
	v_mov_b32_e32 v5, v7
	;; [unrolled: 1-line block ×4, first 2 shown]
.LBB11_43:
	s_or_b64 exec, exec, s[2:3]
	ds_bpermute_b32 v3, v11, v1
	ds_bpermute_b32 v4, v11, v2
	s_waitcnt lgkmcnt(2)
	ds_bpermute_b32 v7, v11, v5
	s_waitcnt lgkmcnt(1)
	v_cmp_ne_u64_e32 vcc, 0, v[3:4]
	s_and_saveexec_b64 s[2:3], vcc
	s_cbranch_execz .LBB11_47
; %bb.44:
	v_cmp_ne_u64_e32 vcc, 0, v[1:2]
	s_waitcnt lgkmcnt(0)
	v_cmp_ngt_f32_e64 s[0:1], v6, v7
	s_and_b64 s[0:1], vcc, s[0:1]
	v_mov_b32_e32 v9, v7
	s_and_saveexec_b64 s[4:5], s[0:1]
; %bb.45:
	v_cmp_lt_i64_e32 vcc, v[3:4], v[1:2]
	v_cmp_eq_f32_e64 s[0:1], v6, v7
	v_cndmask_b32_e32 v4, v2, v4, vcc
	s_and_b64 vcc, s[0:1], vcc
	v_cndmask_b32_e64 v4, v2, v4, s[0:1]
	v_cndmask_b32_e32 v3, v1, v3, vcc
	v_mov_b32_e32 v9, v6
	v_mov_b32_e32 v7, v5
; %bb.46:
	s_or_b64 exec, exec, s[4:5]
	v_mov_b32_e32 v1, v3
	v_mov_b32_e32 v5, v7
	;; [unrolled: 1-line block ×4, first 2 shown]
.LBB11_47:
	s_or_b64 exec, exec, s[2:3]
	ds_bpermute_b32 v3, v12, v1
	ds_bpermute_b32 v4, v12, v2
	s_waitcnt lgkmcnt(2)
	ds_bpermute_b32 v7, v12, v5
	s_waitcnt lgkmcnt(1)
	v_cmp_ne_u64_e32 vcc, 0, v[3:4]
	s_and_saveexec_b64 s[2:3], vcc
	s_cbranch_execz .LBB11_51
; %bb.48:
	v_cmp_ne_u64_e32 vcc, 0, v[1:2]
	s_waitcnt lgkmcnt(0)
	v_cmp_ngt_f32_e64 s[0:1], v6, v7
	s_and_b64 s[0:1], vcc, s[0:1]
	v_mov_b32_e32 v9, v7
	s_and_saveexec_b64 s[4:5], s[0:1]
; %bb.49:
	v_cmp_lt_i64_e32 vcc, v[3:4], v[1:2]
	v_cmp_eq_f32_e64 s[0:1], v6, v7
	v_cndmask_b32_e32 v4, v2, v4, vcc
	s_and_b64 vcc, s[0:1], vcc
	v_cndmask_b32_e64 v4, v2, v4, s[0:1]
	v_cndmask_b32_e32 v3, v1, v3, vcc
	v_mov_b32_e32 v9, v6
	v_mov_b32_e32 v7, v5
; %bb.50:
	s_or_b64 exec, exec, s[4:5]
	v_mov_b32_e32 v1, v3
	v_mov_b32_e32 v5, v7
	;; [unrolled: 1-line block ×4, first 2 shown]
.LBB11_51:
	s_or_b64 exec, exec, s[2:3]
	ds_bpermute_b32 v3, v8, v1
	ds_bpermute_b32 v4, v8, v2
	;; [unrolled: 1-line block ×3, first 2 shown]
	s_waitcnt lgkmcnt(1)
	v_cmp_ne_u64_e32 vcc, 0, v[3:4]
	s_and_saveexec_b64 s[12:13], vcc
	s_cbranch_execz .LBB11_53
; %bb.52:
	v_cmp_lt_i64_e64 s[2:3], v[3:4], v[1:2]
	v_cmp_eq_u64_e32 vcc, 0, v[1:2]
	s_waitcnt lgkmcnt(0)
	v_cmp_eq_f32_e64 s[4:5], v6, v5
	v_cmp_gt_f32_e64 s[0:1], v6, v5
	s_and_b64 s[2:3], s[4:5], s[2:3]
	v_cndmask_b32_e64 v2, v2, v4, s[2:3]
	s_or_b64 vcc, vcc, s[0:1]
	v_cndmask_b32_e32 v2, v2, v4, vcc
	s_or_b64 vcc, vcc, s[2:3]
	v_cndmask_b32_e32 v1, v1, v3, vcc
.LBB11_53:
	s_or_b64 exec, exec, s[12:13]
.LBB11_54:
	s_or_b64 exec, exec, s[8:9]
	s_mov_b32 s7, 0
	v_cmp_eq_u32_e32 vcc, 0, v0
	s_and_saveexec_b64 s[0:1], vcc
	s_cbranch_execz .LBB11_56
; %bb.55:
	s_lshl_b64 s[0:1], s[6:7], 3
	s_add_u32 s0, s10, s0
	s_addc_u32 s1, s11, s1
	v_mov_b32_e32 v0, 0
	s_waitcnt lgkmcnt(1)
	global_store_dwordx2 v0, v[1:2], s[0:1]
.LBB11_56:
	s_endpgm
	.section	.rodata,"a",@progbits
	.p2align	6, 0x0
	.amdhsa_kernel _ZL35rocblas_iamax_iamin_kernel_part2_64ILi1024E22rocblas_reduce_amin_6424rocblas_index_64_value_tIfElEviPT1_PT2_
		.amdhsa_group_segment_fixed_size 1024
		.amdhsa_private_segment_fixed_size 0
		.amdhsa_kernarg_size 24
		.amdhsa_user_sgpr_count 6
		.amdhsa_user_sgpr_private_segment_buffer 1
		.amdhsa_user_sgpr_dispatch_ptr 0
		.amdhsa_user_sgpr_queue_ptr 0
		.amdhsa_user_sgpr_kernarg_segment_ptr 1
		.amdhsa_user_sgpr_dispatch_id 0
		.amdhsa_user_sgpr_flat_scratch_init 0
		.amdhsa_user_sgpr_private_segment_size 0
		.amdhsa_uses_dynamic_stack 0
		.amdhsa_system_sgpr_private_segment_wavefront_offset 0
		.amdhsa_system_sgpr_workgroup_id_x 1
		.amdhsa_system_sgpr_workgroup_id_y 0
		.amdhsa_system_sgpr_workgroup_id_z 0
		.amdhsa_system_sgpr_workgroup_info 0
		.amdhsa_system_vgpr_workitem_id 0
		.amdhsa_next_free_vgpr 16
		.amdhsa_next_free_sgpr 16
		.amdhsa_reserve_vcc 1
		.amdhsa_reserve_flat_scratch 0
		.amdhsa_float_round_mode_32 0
		.amdhsa_float_round_mode_16_64 0
		.amdhsa_float_denorm_mode_32 3
		.amdhsa_float_denorm_mode_16_64 3
		.amdhsa_dx10_clamp 1
		.amdhsa_ieee_mode 1
		.amdhsa_fp16_overflow 0
		.amdhsa_exception_fp_ieee_invalid_op 0
		.amdhsa_exception_fp_denorm_src 0
		.amdhsa_exception_fp_ieee_div_zero 0
		.amdhsa_exception_fp_ieee_overflow 0
		.amdhsa_exception_fp_ieee_underflow 0
		.amdhsa_exception_fp_ieee_inexact 0
		.amdhsa_exception_int_div_zero 0
	.end_amdhsa_kernel
	.section	.text._ZL35rocblas_iamax_iamin_kernel_part2_64ILi1024E22rocblas_reduce_amin_6424rocblas_index_64_value_tIfElEviPT1_PT2_,"axG",@progbits,_ZL35rocblas_iamax_iamin_kernel_part2_64ILi1024E22rocblas_reduce_amin_6424rocblas_index_64_value_tIfElEviPT1_PT2_,comdat
.Lfunc_end11:
	.size	_ZL35rocblas_iamax_iamin_kernel_part2_64ILi1024E22rocblas_reduce_amin_6424rocblas_index_64_value_tIfElEviPT1_PT2_, .Lfunc_end11-_ZL35rocblas_iamax_iamin_kernel_part2_64ILi1024E22rocblas_reduce_amin_6424rocblas_index_64_value_tIfElEviPT1_PT2_
                                        ; -- End function
	.set _ZL35rocblas_iamax_iamin_kernel_part2_64ILi1024E22rocblas_reduce_amin_6424rocblas_index_64_value_tIfElEviPT1_PT2_.num_vgpr, 16
	.set _ZL35rocblas_iamax_iamin_kernel_part2_64ILi1024E22rocblas_reduce_amin_6424rocblas_index_64_value_tIfElEviPT1_PT2_.num_agpr, 0
	.set _ZL35rocblas_iamax_iamin_kernel_part2_64ILi1024E22rocblas_reduce_amin_6424rocblas_index_64_value_tIfElEviPT1_PT2_.numbered_sgpr, 16
	.set _ZL35rocblas_iamax_iamin_kernel_part2_64ILi1024E22rocblas_reduce_amin_6424rocblas_index_64_value_tIfElEviPT1_PT2_.num_named_barrier, 0
	.set _ZL35rocblas_iamax_iamin_kernel_part2_64ILi1024E22rocblas_reduce_amin_6424rocblas_index_64_value_tIfElEviPT1_PT2_.private_seg_size, 0
	.set _ZL35rocblas_iamax_iamin_kernel_part2_64ILi1024E22rocblas_reduce_amin_6424rocblas_index_64_value_tIfElEviPT1_PT2_.uses_vcc, 1
	.set _ZL35rocblas_iamax_iamin_kernel_part2_64ILi1024E22rocblas_reduce_amin_6424rocblas_index_64_value_tIfElEviPT1_PT2_.uses_flat_scratch, 0
	.set _ZL35rocblas_iamax_iamin_kernel_part2_64ILi1024E22rocblas_reduce_amin_6424rocblas_index_64_value_tIfElEviPT1_PT2_.has_dyn_sized_stack, 0
	.set _ZL35rocblas_iamax_iamin_kernel_part2_64ILi1024E22rocblas_reduce_amin_6424rocblas_index_64_value_tIfElEviPT1_PT2_.has_recursion, 0
	.set _ZL35rocblas_iamax_iamin_kernel_part2_64ILi1024E22rocblas_reduce_amin_6424rocblas_index_64_value_tIfElEviPT1_PT2_.has_indirect_call, 0
	.section	.AMDGPU.csdata,"",@progbits
; Kernel info:
; codeLenInByte = 2088
; TotalNumSgprs: 20
; NumVgprs: 16
; ScratchSize: 0
; MemoryBound: 0
; FloatMode: 240
; IeeeMode: 1
; LDSByteSize: 1024 bytes/workgroup (compile time only)
; SGPRBlocks: 2
; VGPRBlocks: 3
; NumSGPRsForWavesPerEU: 20
; NumVGPRsForWavesPerEU: 16
; Occupancy: 10
; WaveLimiterHint : 0
; COMPUTE_PGM_RSRC2:SCRATCH_EN: 0
; COMPUTE_PGM_RSRC2:USER_SGPR: 6
; COMPUTE_PGM_RSRC2:TRAP_HANDLER: 0
; COMPUTE_PGM_RSRC2:TGID_X_EN: 1
; COMPUTE_PGM_RSRC2:TGID_Y_EN: 0
; COMPUTE_PGM_RSRC2:TGID_Z_EN: 0
; COMPUTE_PGM_RSRC2:TIDIG_COMP_CNT: 0
	.section	.text._ZL35rocblas_iamax_iamin_kernel_part1_64ILi1024E26rocblas_fetch_amax_amin_64IdE22rocblas_reduce_amin_64PKd24rocblas_index_64_value_tIdEEvlT2_lllPT3_,"axG",@progbits,_ZL35rocblas_iamax_iamin_kernel_part1_64ILi1024E26rocblas_fetch_amax_amin_64IdE22rocblas_reduce_amin_64PKd24rocblas_index_64_value_tIdEEvlT2_lllPT3_,comdat
	.globl	_ZL35rocblas_iamax_iamin_kernel_part1_64ILi1024E26rocblas_fetch_amax_amin_64IdE22rocblas_reduce_amin_64PKd24rocblas_index_64_value_tIdEEvlT2_lllPT3_ ; -- Begin function _ZL35rocblas_iamax_iamin_kernel_part1_64ILi1024E26rocblas_fetch_amax_amin_64IdE22rocblas_reduce_amin_64PKd24rocblas_index_64_value_tIdEEvlT2_lllPT3_
	.p2align	8
	.type	_ZL35rocblas_iamax_iamin_kernel_part1_64ILi1024E26rocblas_fetch_amax_amin_64IdE22rocblas_reduce_amin_64PKd24rocblas_index_64_value_tIdEEvlT2_lllPT3_,@function
_ZL35rocblas_iamax_iamin_kernel_part1_64ILi1024E26rocblas_fetch_amax_amin_64IdE22rocblas_reduce_amin_64PKd24rocblas_index_64_value_tIdEEvlT2_lllPT3_: ; @_ZL35rocblas_iamax_iamin_kernel_part1_64ILi1024E26rocblas_fetch_amax_amin_64IdE22rocblas_reduce_amin_64PKd24rocblas_index_64_value_tIdEEvlT2_lllPT3_
; %bb.0:
	s_load_dwordx8 s[20:27], s[4:5], 0x0
	s_load_dwordx4 s[16:19], s[4:5], 0x20
	s_mov_b32 s10, s7
	s_waitcnt lgkmcnt(0)
	v_cmp_lt_i64_e64 s[0:1], s[20:21], 1
	s_and_b64 vcc, exec, s[0:1]
	s_cbranch_vccnz .LBB12_53
; %bb.1:
	v_mbcnt_lo_u32_b32 v2, -1, 0
	v_mbcnt_hi_u32_b32 v2, -1, v2
	v_and_b32_e32 v3, 63, v2
	v_mov_b32_e32 v4, 0x80
	v_cmp_gt_u32_e32 vcc, 48, v3
	v_lshl_or_b32 v22, v2, 2, v4
	v_cndmask_b32_e64 v4, 0, 16, vcc
	v_cmp_gt_u32_e32 vcc, 56, v3
	v_add_lshl_u32 v23, v4, v2, 2
	v_cndmask_b32_e64 v4, 0, 8, vcc
	v_cmp_gt_u32_e32 vcc, 60, v3
	v_add_lshl_u32 v24, v4, v2, 2
	v_cndmask_b32_e64 v4, 0, 4, vcc
	v_cmp_gt_u32_e32 vcc, 62, v3
	v_and_b32_e32 v1, 63, v0
	v_add_lshl_u32 v25, v4, v2, 2
	v_cndmask_b32_e64 v4, 0, 2, vcc
	v_cmp_ne_u32_e32 vcc, 63, v3
	v_lshlrev_b32_e32 v21, 4, v1
	v_add_lshl_u32 v26, v4, v2, 2
	v_addc_co_u32_e32 v2, vcc, 0, v2, vcc
	v_cmp_eq_u32_e64 s[2:3], 0, v1
	v_lshrrev_b32_e32 v1, 2, v0
	v_lshl_or_b32 v29, s6, 10, v0
	v_lshlrev_b32_e32 v27, 2, v2
	s_load_dword s7, s[4:5], 0x30
	v_and_b32_e32 v28, 0xf0, v1
	v_mad_u64_u32 v[1:2], s[12:13], s26, v29, 0
	s_mul_i32 s11, s17, s10
	s_mul_hi_u32 s12, s16, s10
	s_add_i32 s13, s12, s11
	v_mad_u64_u32 v[2:3], s[14:15], s27, v29, v[2:3]
	s_mul_i32 s12, s16, s10
	s_waitcnt lgkmcnt(0)
	s_lshl_b32 s7, s7, 10
	s_lshl_b64 s[12:13], s[12:13], 3
	s_lshl_b64 s[14:15], s[24:25], 3
	s_add_u32 s11, s22, s14
	s_addc_u32 s14, s23, s15
	v_lshlrev_b64 v[1:2], 3, v[1:2]
	s_add_u32 s11, s11, s12
	s_addc_u32 s12, s14, s13
	v_mov_b32_e32 v3, s12
	v_add_co_u32_e64 v15, s[12:13], s11, v1
	v_addc_co_u32_e64 v16, s[12:13], v3, v2, s[12:13]
	s_mul_i32 s11, s27, s7
	s_mul_hi_u32 s12, s26, s7
	v_cmp_ne_u32_e32 vcc, 0, v0
	s_add_i32 s13, s12, s11
	s_mul_i32 s12, s26, s7
	v_mov_b32_e32 v1, 0
	v_cmp_gt_u32_e64 s[0:1], 64, v0
	v_cmp_gt_u32_e64 s[8:9], 16, v0
	v_mov_b32_e32 v5, 0
	s_lshl_b64 s[22:23], s[12:13], 3
	s_mov_b64 s[24:25], 0
	v_mov_b32_e32 v2, 0
	s_xor_b64 s[26:27], vcc, -1
                                        ; implicit-def: $vgpr9_vgpr10
	s_branch .LBB12_4
.LBB12_2:                               ;   in Loop: Header=BB12_4 Depth=1
	s_or_b64 exec, exec, s[16:17]
	v_mov_b32_e32 v1, v7
	v_mov_b32_e32 v3, v11
	;; [unrolled: 1-line block ×4, first 2 shown]
.LBB12_3:                               ;   in Loop: Header=BB12_4 Depth=1
	s_or_b64 exec, exec, s[14:15]
	s_add_u32 s24, s24, s7
	v_mov_b32_e32 v6, s20
	s_addc_u32 s25, s25, 0
	v_mov_b32_e32 v7, s21
	v_cmp_ge_i64_e32 vcc, s[24:25], v[6:7]
	v_mov_b32_e32 v8, s23
	v_add_co_u32_e64 v15, s[12:13], s22, v15
	v_addc_co_u32_e64 v16, s[12:13], v16, v8, s[12:13]
	s_cbranch_vccnz .LBB12_54
.LBB12_4:                               ; =>This Inner Loop Header: Depth=1
	v_mov_b32_e32 v7, s25
	v_add_co_u32_e32 v6, vcc, s24, v29
	v_addc_co_u32_e32 v7, vcc, 0, v7, vcc
	v_cmp_gt_i64_e32 vcc, s[20:21], v[6:7]
	v_mov_b32_e32 v11, 0
	v_mov_b32_e32 v12, 0
	s_and_saveexec_b64 s[12:13], vcc
	s_cbranch_execz .LBB12_6
; %bb.5:                                ;   in Loop: Header=BB12_4 Depth=1
	global_load_dwordx2 v[9:10], v[15:16], off
	v_add_co_u32_e32 v11, vcc, 1, v6
	v_addc_co_u32_e32 v12, vcc, 0, v7, vcc
	s_waitcnt vmcnt(0)
	v_cmp_gt_f64_e32 vcc, 0, v[9:10]
	v_xor_b32_e32 v6, 0x80000000, v10
	v_cndmask_b32_e32 v10, v10, v6, vcc
.LBB12_6:                               ;   in Loop: Header=BB12_4 Depth=1
	s_or_b64 exec, exec, s[12:13]
	s_and_saveexec_b64 s[12:13], s[0:1]
; %bb.7:                                ;   in Loop: Header=BB12_4 Depth=1
	v_mov_b32_e32 v6, v5
	v_mov_b32_e32 v7, v5
	;; [unrolled: 1-line block ×3, first 2 shown]
	ds_write_b128 v21, v[5:8]
; %bb.8:                                ;   in Loop: Header=BB12_4 Depth=1
	s_or_b64 exec, exec, s[12:13]
	ds_bpermute_b32 v6, v22, v11
	ds_bpermute_b32 v7, v22, v12
	;; [unrolled: 1-line block ×4, first 2 shown]
	v_mov_b32_e32 v14, v10
	v_mov_b32_e32 v13, v9
	s_waitcnt lgkmcnt(2)
	v_cmp_ne_u64_e32 vcc, 0, v[6:7]
	s_waitcnt lgkmcnt(0)
	s_barrier
	s_and_saveexec_b64 s[14:15], vcc
	s_cbranch_execz .LBB12_12
; %bb.9:                                ;   in Loop: Header=BB12_4 Depth=1
	v_cmp_ngt_f64_e32 vcc, v[9:10], v[17:18]
	v_cmp_ne_u64_e64 s[12:13], 0, v[11:12]
	v_mov_b32_e32 v13, v17
	v_mov_b32_e32 v14, v18
	s_and_b64 s[12:13], s[12:13], vcc
	s_and_saveexec_b64 s[16:17], s[12:13]
	s_cbranch_execz .LBB12_11
; %bb.10:                               ;   in Loop: Header=BB12_4 Depth=1
	v_cmp_eq_f64_e64 s[12:13], v[9:10], v[17:18]
	v_cmp_lt_i64_e32 vcc, v[6:7], v[11:12]
	v_mov_b32_e32 v14, v10
	v_cndmask_b32_e32 v7, v12, v7, vcc
	v_mov_b32_e32 v13, v9
	v_mov_b32_e32 v17, v9
	;; [unrolled: 1-line block ×3, first 2 shown]
	s_and_b64 vcc, s[12:13], vcc
	v_cndmask_b32_e64 v7, v12, v7, s[12:13]
	v_cndmask_b32_e32 v6, v11, v6, vcc
.LBB12_11:                              ;   in Loop: Header=BB12_4 Depth=1
	s_or_b64 exec, exec, s[16:17]
	v_mov_b32_e32 v12, v7
	v_mov_b32_e32 v10, v18
	;; [unrolled: 1-line block ×4, first 2 shown]
.LBB12_12:                              ;   in Loop: Header=BB12_4 Depth=1
	s_or_b64 exec, exec, s[14:15]
	ds_bpermute_b32 v6, v23, v11
	ds_bpermute_b32 v7, v23, v12
	;; [unrolled: 1-line block ×4, first 2 shown]
	s_waitcnt lgkmcnt(2)
	v_cmp_ne_u64_e32 vcc, 0, v[6:7]
	s_and_saveexec_b64 s[14:15], vcc
	s_cbranch_execz .LBB12_16
; %bb.13:                               ;   in Loop: Header=BB12_4 Depth=1
	s_waitcnt lgkmcnt(0)
	v_cmp_ngt_f64_e32 vcc, v[13:14], v[17:18]
	v_cmp_ne_u64_e64 s[12:13], 0, v[11:12]
	v_mov_b32_e32 v20, v18
	v_mov_b32_e32 v19, v17
	s_and_b64 s[12:13], s[12:13], vcc
	s_and_saveexec_b64 s[16:17], s[12:13]
	s_cbranch_execz .LBB12_15
; %bb.14:                               ;   in Loop: Header=BB12_4 Depth=1
	v_cmp_eq_f64_e64 s[12:13], v[13:14], v[17:18]
	v_cmp_lt_i64_e32 vcc, v[6:7], v[11:12]
	v_mov_b32_e32 v20, v14
	v_cndmask_b32_e32 v7, v12, v7, vcc
	v_mov_b32_e32 v19, v13
	v_mov_b32_e32 v17, v9
	v_mov_b32_e32 v18, v10
	s_and_b64 vcc, s[12:13], vcc
	v_cndmask_b32_e64 v7, v12, v7, s[12:13]
	v_cndmask_b32_e32 v6, v11, v6, vcc
.LBB12_15:                              ;   in Loop: Header=BB12_4 Depth=1
	s_or_b64 exec, exec, s[16:17]
	v_mov_b32_e32 v12, v7
	v_mov_b32_e32 v13, v19
	v_mov_b32_e32 v10, v18
	v_mov_b32_e32 v9, v17
	v_mov_b32_e32 v11, v6
	v_mov_b32_e32 v14, v20
.LBB12_16:                              ;   in Loop: Header=BB12_4 Depth=1
	s_or_b64 exec, exec, s[14:15]
	ds_bpermute_b32 v6, v24, v11
	ds_bpermute_b32 v7, v24, v12
	s_waitcnt lgkmcnt(3)
	ds_bpermute_b32 v17, v24, v9
	s_waitcnt lgkmcnt(3)
	ds_bpermute_b32 v18, v24, v10
	s_waitcnt lgkmcnt(2)
	v_cmp_ne_u64_e32 vcc, 0, v[6:7]
	s_and_saveexec_b64 s[14:15], vcc
	s_cbranch_execz .LBB12_20
; %bb.17:                               ;   in Loop: Header=BB12_4 Depth=1
	s_waitcnt lgkmcnt(0)
	v_cmp_ngt_f64_e32 vcc, v[13:14], v[17:18]
	v_cmp_ne_u64_e64 s[12:13], 0, v[11:12]
	v_mov_b32_e32 v20, v18
	v_mov_b32_e32 v19, v17
	s_and_b64 s[12:13], s[12:13], vcc
	s_and_saveexec_b64 s[16:17], s[12:13]
	s_cbranch_execz .LBB12_19
; %bb.18:                               ;   in Loop: Header=BB12_4 Depth=1
	v_cmp_eq_f64_e64 s[12:13], v[13:14], v[17:18]
	v_cmp_lt_i64_e32 vcc, v[6:7], v[11:12]
	v_mov_b32_e32 v20, v14
	v_cndmask_b32_e32 v7, v12, v7, vcc
	v_mov_b32_e32 v19, v13
	v_mov_b32_e32 v17, v9
	v_mov_b32_e32 v18, v10
	s_and_b64 vcc, s[12:13], vcc
	v_cndmask_b32_e64 v7, v12, v7, s[12:13]
	v_cndmask_b32_e32 v6, v11, v6, vcc
.LBB12_19:                              ;   in Loop: Header=BB12_4 Depth=1
	s_or_b64 exec, exec, s[16:17]
	v_mov_b32_e32 v12, v7
	v_mov_b32_e32 v13, v19
	v_mov_b32_e32 v10, v18
	v_mov_b32_e32 v9, v17
	v_mov_b32_e32 v11, v6
	v_mov_b32_e32 v14, v20
.LBB12_20:                              ;   in Loop: Header=BB12_4 Depth=1
	s_or_b64 exec, exec, s[14:15]
	ds_bpermute_b32 v6, v25, v11
	ds_bpermute_b32 v7, v25, v12
	s_waitcnt lgkmcnt(3)
	ds_bpermute_b32 v17, v25, v9
	s_waitcnt lgkmcnt(3)
	ds_bpermute_b32 v18, v25, v10
	;; [unrolled: 40-line block ×3, first 2 shown]
	s_waitcnt lgkmcnt(2)
	v_cmp_ne_u64_e32 vcc, 0, v[6:7]
	s_and_saveexec_b64 s[14:15], vcc
	s_cbranch_execz .LBB12_28
; %bb.25:                               ;   in Loop: Header=BB12_4 Depth=1
	s_waitcnt lgkmcnt(0)
	v_cmp_ngt_f64_e32 vcc, v[13:14], v[17:18]
	v_cmp_ne_u64_e64 s[12:13], 0, v[11:12]
	v_mov_b32_e32 v20, v18
	v_mov_b32_e32 v19, v17
	s_and_b64 s[12:13], s[12:13], vcc
	s_and_saveexec_b64 s[16:17], s[12:13]
	s_cbranch_execz .LBB12_27
; %bb.26:                               ;   in Loop: Header=BB12_4 Depth=1
	v_cmp_eq_f64_e64 s[12:13], v[13:14], v[17:18]
	v_cmp_lt_i64_e32 vcc, v[6:7], v[11:12]
	v_mov_b32_e32 v20, v14
	v_cndmask_b32_e32 v7, v12, v7, vcc
	v_mov_b32_e32 v19, v13
	v_mov_b32_e32 v17, v9
	;; [unrolled: 1-line block ×3, first 2 shown]
	s_and_b64 vcc, s[12:13], vcc
	v_cndmask_b32_e64 v7, v12, v7, s[12:13]
	v_cndmask_b32_e32 v6, v11, v6, vcc
.LBB12_27:                              ;   in Loop: Header=BB12_4 Depth=1
	s_or_b64 exec, exec, s[16:17]
	v_mov_b32_e32 v12, v7
	v_mov_b32_e32 v13, v19
	;; [unrolled: 1-line block ×6, first 2 shown]
.LBB12_28:                              ;   in Loop: Header=BB12_4 Depth=1
	s_or_b64 exec, exec, s[14:15]
	ds_bpermute_b32 v6, v27, v11
	ds_bpermute_b32 v7, v27, v12
	;; [unrolled: 1-line block ×4, first 2 shown]
	s_waitcnt lgkmcnt(2)
	v_cmp_ne_u64_e32 vcc, 0, v[6:7]
	s_and_saveexec_b64 s[28:29], vcc
	s_cbranch_execz .LBB12_30
; %bb.29:                               ;   in Loop: Header=BB12_4 Depth=1
	s_waitcnt lgkmcnt(0)
	v_mov_b32_e32 v9, v10
	v_cmp_eq_f64_e32 vcc, v[13:14], v[8:9]
	v_cmp_gt_f64_e64 s[12:13], v[13:14], v[8:9]
	v_cmp_lt_i64_e64 s[14:15], v[6:7], v[11:12]
	v_cmp_eq_u64_e64 s[16:17], 0, v[11:12]
	s_and_b64 s[14:15], vcc, s[14:15]
	s_or_b64 vcc, s[16:17], s[12:13]
	s_or_b64 s[12:13], vcc, s[14:15]
	v_cndmask_b32_e32 v14, v14, v10, vcc
	v_cndmask_b32_e64 v12, v12, v7, s[12:13]
	v_cndmask_b32_e64 v11, v11, v6, s[12:13]
	v_cndmask_b32_e32 v13, v13, v8, vcc
.LBB12_30:                              ;   in Loop: Header=BB12_4 Depth=1
	s_or_b64 exec, exec, s[28:29]
	s_and_saveexec_b64 s[12:13], s[2:3]
; %bb.31:                               ;   in Loop: Header=BB12_4 Depth=1
	ds_write_b128 v28, v[11:14]
; %bb.32:                               ;   in Loop: Header=BB12_4 Depth=1
	s_or_b64 exec, exec, s[12:13]
	s_waitcnt lgkmcnt(0)
	v_mov_b32_e32 v9, 0
	v_mov_b32_e32 v7, 0
	;; [unrolled: 1-line block ×4, first 2 shown]
	s_barrier
	s_and_saveexec_b64 s[12:13], s[8:9]
; %bb.33:                               ;   in Loop: Header=BB12_4 Depth=1
	ds_read_b128 v[7:10], v21
; %bb.34:                               ;   in Loop: Header=BB12_4 Depth=1
	s_or_b64 exec, exec, s[12:13]
	s_and_saveexec_b64 s[28:29], s[0:1]
	s_cbranch_execz .LBB12_50
; %bb.35:                               ;   in Loop: Header=BB12_4 Depth=1
	s_waitcnt lgkmcnt(0)
	ds_bpermute_b32 v13, v24, v7
	ds_bpermute_b32 v14, v24, v8
	;; [unrolled: 1-line block ×4, first 2 shown]
	v_mov_b32_e32 v12, v10
	v_mov_b32_e32 v11, v9
	s_waitcnt lgkmcnt(2)
	v_cmp_ne_u64_e32 vcc, 0, v[13:14]
	s_and_saveexec_b64 s[14:15], vcc
	s_cbranch_execz .LBB12_39
; %bb.36:                               ;   in Loop: Header=BB12_4 Depth=1
	s_waitcnt lgkmcnt(0)
	v_cmp_ngt_f64_e32 vcc, v[9:10], v[17:18]
	v_cmp_ne_u64_e64 s[12:13], 0, v[7:8]
	v_mov_b32_e32 v11, v17
	v_mov_b32_e32 v12, v18
	s_and_b64 s[12:13], s[12:13], vcc
	s_and_saveexec_b64 s[16:17], s[12:13]
	s_cbranch_execz .LBB12_38
; %bb.37:                               ;   in Loop: Header=BB12_4 Depth=1
	v_cmp_eq_f64_e64 s[12:13], v[9:10], v[17:18]
	v_cmp_lt_i64_e32 vcc, v[13:14], v[7:8]
	v_mov_b32_e32 v12, v10
	v_cndmask_b32_e32 v6, v8, v14, vcc
	v_mov_b32_e32 v11, v9
	v_mov_b32_e32 v17, v9
	;; [unrolled: 1-line block ×3, first 2 shown]
	s_and_b64 vcc, s[12:13], vcc
	v_cndmask_b32_e64 v14, v8, v6, s[12:13]
	v_cndmask_b32_e32 v13, v7, v13, vcc
.LBB12_38:                              ;   in Loop: Header=BB12_4 Depth=1
	s_or_b64 exec, exec, s[16:17]
	v_mov_b32_e32 v7, v13
	v_mov_b32_e32 v10, v18
	;; [unrolled: 1-line block ×4, first 2 shown]
.LBB12_39:                              ;   in Loop: Header=BB12_4 Depth=1
	s_or_b64 exec, exec, s[14:15]
	ds_bpermute_b32 v13, v25, v7
	ds_bpermute_b32 v14, v25, v8
	s_waitcnt lgkmcnt(3)
	ds_bpermute_b32 v17, v25, v9
	s_waitcnt lgkmcnt(3)
	;; [unrolled: 2-line block ×3, first 2 shown]
	v_cmp_ne_u64_e32 vcc, 0, v[13:14]
	s_and_saveexec_b64 s[14:15], vcc
	s_cbranch_execz .LBB12_43
; %bb.40:                               ;   in Loop: Header=BB12_4 Depth=1
	s_waitcnt lgkmcnt(0)
	v_cmp_ngt_f64_e32 vcc, v[11:12], v[17:18]
	v_cmp_ne_u64_e64 s[12:13], 0, v[7:8]
	v_mov_b32_e32 v20, v18
	v_mov_b32_e32 v19, v17
	s_and_b64 s[12:13], s[12:13], vcc
	s_and_saveexec_b64 s[16:17], s[12:13]
	s_cbranch_execz .LBB12_42
; %bb.41:                               ;   in Loop: Header=BB12_4 Depth=1
	v_cmp_eq_f64_e64 s[12:13], v[11:12], v[17:18]
	v_cmp_lt_i64_e32 vcc, v[13:14], v[7:8]
	v_mov_b32_e32 v20, v12
	v_cndmask_b32_e32 v6, v8, v14, vcc
	v_mov_b32_e32 v19, v11
	v_mov_b32_e32 v17, v9
	;; [unrolled: 1-line block ×3, first 2 shown]
	s_and_b64 vcc, s[12:13], vcc
	v_cndmask_b32_e64 v14, v8, v6, s[12:13]
	v_cndmask_b32_e32 v13, v7, v13, vcc
.LBB12_42:                              ;   in Loop: Header=BB12_4 Depth=1
	s_or_b64 exec, exec, s[16:17]
	v_mov_b32_e32 v7, v13
	v_mov_b32_e32 v11, v19
	;; [unrolled: 1-line block ×6, first 2 shown]
.LBB12_43:                              ;   in Loop: Header=BB12_4 Depth=1
	s_or_b64 exec, exec, s[14:15]
	ds_bpermute_b32 v13, v26, v7
	ds_bpermute_b32 v14, v26, v8
	s_waitcnt lgkmcnt(3)
	ds_bpermute_b32 v17, v26, v9
	s_waitcnt lgkmcnt(3)
	;; [unrolled: 2-line block ×3, first 2 shown]
	v_cmp_ne_u64_e32 vcc, 0, v[13:14]
	s_and_saveexec_b64 s[14:15], vcc
	s_cbranch_execz .LBB12_47
; %bb.44:                               ;   in Loop: Header=BB12_4 Depth=1
	s_waitcnt lgkmcnt(0)
	v_cmp_ngt_f64_e32 vcc, v[11:12], v[17:18]
	v_cmp_ne_u64_e64 s[12:13], 0, v[7:8]
	v_mov_b32_e32 v20, v18
	v_mov_b32_e32 v19, v17
	s_and_b64 s[12:13], s[12:13], vcc
	s_and_saveexec_b64 s[16:17], s[12:13]
	s_cbranch_execz .LBB12_46
; %bb.45:                               ;   in Loop: Header=BB12_4 Depth=1
	v_cmp_eq_f64_e64 s[12:13], v[11:12], v[17:18]
	v_cmp_lt_i64_e32 vcc, v[13:14], v[7:8]
	v_mov_b32_e32 v20, v12
	v_cndmask_b32_e32 v6, v8, v14, vcc
	v_mov_b32_e32 v19, v11
	v_mov_b32_e32 v17, v9
	;; [unrolled: 1-line block ×3, first 2 shown]
	s_and_b64 vcc, s[12:13], vcc
	v_cndmask_b32_e64 v14, v8, v6, s[12:13]
	v_cndmask_b32_e32 v13, v7, v13, vcc
.LBB12_46:                              ;   in Loop: Header=BB12_4 Depth=1
	s_or_b64 exec, exec, s[16:17]
	v_mov_b32_e32 v7, v13
	v_mov_b32_e32 v11, v19
	;; [unrolled: 1-line block ×6, first 2 shown]
.LBB12_47:                              ;   in Loop: Header=BB12_4 Depth=1
	s_or_b64 exec, exec, s[14:15]
	ds_bpermute_b32 v13, v27, v7
	ds_bpermute_b32 v14, v27, v8
	;; [unrolled: 1-line block ×4, first 2 shown]
	s_waitcnt lgkmcnt(2)
	v_cmp_ne_u64_e32 vcc, 0, v[13:14]
	s_and_saveexec_b64 s[30:31], vcc
	s_cbranch_execz .LBB12_49
; %bb.48:                               ;   in Loop: Header=BB12_4 Depth=1
	s_waitcnt lgkmcnt(0)
	v_mov_b32_e32 v10, v6
	v_cmp_eq_f64_e32 vcc, v[11:12], v[9:10]
	v_cmp_gt_f64_e64 s[12:13], v[11:12], v[9:10]
	v_cmp_lt_i64_e64 s[14:15], v[13:14], v[7:8]
	v_cmp_eq_u64_e64 s[16:17], 0, v[7:8]
	s_and_b64 s[14:15], vcc, s[14:15]
	s_or_b64 vcc, s[16:17], s[12:13]
	s_or_b64 s[12:13], vcc, s[14:15]
	v_cndmask_b32_e32 v12, v12, v6, vcc
	v_cndmask_b32_e64 v8, v8, v14, s[12:13]
	v_cndmask_b32_e64 v7, v7, v13, s[12:13]
	v_cndmask_b32_e32 v11, v11, v9, vcc
.LBB12_49:                              ;   in Loop: Header=BB12_4 Depth=1
	s_or_b64 exec, exec, s[30:31]
	s_waitcnt lgkmcnt(1)
	v_mov_b32_e32 v9, v11
	v_mov_b32_e32 v10, v12
.LBB12_50:                              ;   in Loop: Header=BB12_4 Depth=1
	s_or_b64 exec, exec, s[28:29]
	s_waitcnt lgkmcnt(0)
	v_cmp_ne_u64_e32 vcc, 0, v[7:8]
	s_and_b64 s[12:13], s[26:27], vcc
	s_and_saveexec_b64 s[14:15], s[12:13]
	s_cbranch_execz .LBB12_3
; %bb.51:                               ;   in Loop: Header=BB12_4 Depth=1
	v_cmp_nlt_f64_e32 vcc, v[9:10], v[3:4]
	v_cmp_ne_u64_e64 s[12:13], 0, v[1:2]
	v_mov_b32_e32 v12, v10
	v_mov_b32_e32 v11, v9
	s_and_b64 s[12:13], s[12:13], vcc
	s_and_saveexec_b64 s[16:17], s[12:13]
	s_cbranch_execz .LBB12_2
; %bb.52:                               ;   in Loop: Header=BB12_4 Depth=1
	v_cmp_eq_f64_e64 s[12:13], v[3:4], v[9:10]
	v_cmp_lt_i64_e32 vcc, v[7:8], v[1:2]
	v_mov_b32_e32 v12, v4
	v_cndmask_b32_e32 v6, v2, v8, vcc
	v_mov_b32_e32 v11, v3
	s_and_b64 vcc, s[12:13], vcc
	v_cndmask_b32_e64 v8, v2, v6, s[12:13]
	v_cndmask_b32_e32 v7, v1, v7, vcc
	s_branch .LBB12_2
.LBB12_53:
	v_mov_b32_e32 v1, 0
	v_mov_b32_e32 v2, 0
.LBB12_54:
	s_mov_b32 s7, 0
	v_cmp_eq_u32_e32 vcc, 0, v0
	s_and_saveexec_b64 s[0:1], vcc
	s_cbranch_execz .LBB12_56
; %bb.55:
	s_load_dword s0, s[4:5], 0x30
	v_mov_b32_e32 v0, 0
	s_waitcnt lgkmcnt(0)
	s_mul_hi_u32 s1, s0, s10
	s_mul_i32 s0, s0, s10
	s_lshl_b64 s[0:1], s[0:1], 4
	s_add_u32 s2, s18, s0
	s_addc_u32 s3, s19, s1
	s_lshl_b64 s[0:1], s[6:7], 4
	s_add_u32 s0, s2, s0
	s_addc_u32 s1, s3, s1
	global_store_dwordx4 v0, v[1:4], s[0:1]
.LBB12_56:
	s_endpgm
	.section	.rodata,"a",@progbits
	.p2align	6, 0x0
	.amdhsa_kernel _ZL35rocblas_iamax_iamin_kernel_part1_64ILi1024E26rocblas_fetch_amax_amin_64IdE22rocblas_reduce_amin_64PKd24rocblas_index_64_value_tIdEEvlT2_lllPT3_
		.amdhsa_group_segment_fixed_size 1024
		.amdhsa_private_segment_fixed_size 0
		.amdhsa_kernarg_size 304
		.amdhsa_user_sgpr_count 6
		.amdhsa_user_sgpr_private_segment_buffer 1
		.amdhsa_user_sgpr_dispatch_ptr 0
		.amdhsa_user_sgpr_queue_ptr 0
		.amdhsa_user_sgpr_kernarg_segment_ptr 1
		.amdhsa_user_sgpr_dispatch_id 0
		.amdhsa_user_sgpr_flat_scratch_init 0
		.amdhsa_user_sgpr_private_segment_size 0
		.amdhsa_uses_dynamic_stack 0
		.amdhsa_system_sgpr_private_segment_wavefront_offset 0
		.amdhsa_system_sgpr_workgroup_id_x 1
		.amdhsa_system_sgpr_workgroup_id_y 0
		.amdhsa_system_sgpr_workgroup_id_z 1
		.amdhsa_system_sgpr_workgroup_info 0
		.amdhsa_system_vgpr_workitem_id 0
		.amdhsa_next_free_vgpr 30
		.amdhsa_next_free_sgpr 32
		.amdhsa_reserve_vcc 1
		.amdhsa_reserve_flat_scratch 0
		.amdhsa_float_round_mode_32 0
		.amdhsa_float_round_mode_16_64 0
		.amdhsa_float_denorm_mode_32 3
		.amdhsa_float_denorm_mode_16_64 3
		.amdhsa_dx10_clamp 1
		.amdhsa_ieee_mode 1
		.amdhsa_fp16_overflow 0
		.amdhsa_exception_fp_ieee_invalid_op 0
		.amdhsa_exception_fp_denorm_src 0
		.amdhsa_exception_fp_ieee_div_zero 0
		.amdhsa_exception_fp_ieee_overflow 0
		.amdhsa_exception_fp_ieee_underflow 0
		.amdhsa_exception_fp_ieee_inexact 0
		.amdhsa_exception_int_div_zero 0
	.end_amdhsa_kernel
	.section	.text._ZL35rocblas_iamax_iamin_kernel_part1_64ILi1024E26rocblas_fetch_amax_amin_64IdE22rocblas_reduce_amin_64PKd24rocblas_index_64_value_tIdEEvlT2_lllPT3_,"axG",@progbits,_ZL35rocblas_iamax_iamin_kernel_part1_64ILi1024E26rocblas_fetch_amax_amin_64IdE22rocblas_reduce_amin_64PKd24rocblas_index_64_value_tIdEEvlT2_lllPT3_,comdat
.Lfunc_end12:
	.size	_ZL35rocblas_iamax_iamin_kernel_part1_64ILi1024E26rocblas_fetch_amax_amin_64IdE22rocblas_reduce_amin_64PKd24rocblas_index_64_value_tIdEEvlT2_lllPT3_, .Lfunc_end12-_ZL35rocblas_iamax_iamin_kernel_part1_64ILi1024E26rocblas_fetch_amax_amin_64IdE22rocblas_reduce_amin_64PKd24rocblas_index_64_value_tIdEEvlT2_lllPT3_
                                        ; -- End function
	.set _ZL35rocblas_iamax_iamin_kernel_part1_64ILi1024E26rocblas_fetch_amax_amin_64IdE22rocblas_reduce_amin_64PKd24rocblas_index_64_value_tIdEEvlT2_lllPT3_.num_vgpr, 30
	.set _ZL35rocblas_iamax_iamin_kernel_part1_64ILi1024E26rocblas_fetch_amax_amin_64IdE22rocblas_reduce_amin_64PKd24rocblas_index_64_value_tIdEEvlT2_lllPT3_.num_agpr, 0
	.set _ZL35rocblas_iamax_iamin_kernel_part1_64ILi1024E26rocblas_fetch_amax_amin_64IdE22rocblas_reduce_amin_64PKd24rocblas_index_64_value_tIdEEvlT2_lllPT3_.numbered_sgpr, 32
	.set _ZL35rocblas_iamax_iamin_kernel_part1_64ILi1024E26rocblas_fetch_amax_amin_64IdE22rocblas_reduce_amin_64PKd24rocblas_index_64_value_tIdEEvlT2_lllPT3_.num_named_barrier, 0
	.set _ZL35rocblas_iamax_iamin_kernel_part1_64ILi1024E26rocblas_fetch_amax_amin_64IdE22rocblas_reduce_amin_64PKd24rocblas_index_64_value_tIdEEvlT2_lllPT3_.private_seg_size, 0
	.set _ZL35rocblas_iamax_iamin_kernel_part1_64ILi1024E26rocblas_fetch_amax_amin_64IdE22rocblas_reduce_amin_64PKd24rocblas_index_64_value_tIdEEvlT2_lllPT3_.uses_vcc, 1
	.set _ZL35rocblas_iamax_iamin_kernel_part1_64ILi1024E26rocblas_fetch_amax_amin_64IdE22rocblas_reduce_amin_64PKd24rocblas_index_64_value_tIdEEvlT2_lllPT3_.uses_flat_scratch, 0
	.set _ZL35rocblas_iamax_iamin_kernel_part1_64ILi1024E26rocblas_fetch_amax_amin_64IdE22rocblas_reduce_amin_64PKd24rocblas_index_64_value_tIdEEvlT2_lllPT3_.has_dyn_sized_stack, 0
	.set _ZL35rocblas_iamax_iamin_kernel_part1_64ILi1024E26rocblas_fetch_amax_amin_64IdE22rocblas_reduce_amin_64PKd24rocblas_index_64_value_tIdEEvlT2_lllPT3_.has_recursion, 0
	.set _ZL35rocblas_iamax_iamin_kernel_part1_64ILi1024E26rocblas_fetch_amax_amin_64IdE22rocblas_reduce_amin_64PKd24rocblas_index_64_value_tIdEEvlT2_lllPT3_.has_indirect_call, 0
	.section	.AMDGPU.csdata,"",@progbits
; Kernel info:
; codeLenInByte = 2404
; TotalNumSgprs: 36
; NumVgprs: 30
; ScratchSize: 0
; MemoryBound: 0
; FloatMode: 240
; IeeeMode: 1
; LDSByteSize: 1024 bytes/workgroup (compile time only)
; SGPRBlocks: 4
; VGPRBlocks: 7
; NumSGPRsForWavesPerEU: 36
; NumVGPRsForWavesPerEU: 30
; Occupancy: 8
; WaveLimiterHint : 0
; COMPUTE_PGM_RSRC2:SCRATCH_EN: 0
; COMPUTE_PGM_RSRC2:USER_SGPR: 6
; COMPUTE_PGM_RSRC2:TRAP_HANDLER: 0
; COMPUTE_PGM_RSRC2:TGID_X_EN: 1
; COMPUTE_PGM_RSRC2:TGID_Y_EN: 0
; COMPUTE_PGM_RSRC2:TGID_Z_EN: 1
; COMPUTE_PGM_RSRC2:TIDIG_COMP_CNT: 0
	.section	.text._ZL35rocblas_iamax_iamin_kernel_part2_64ILi1024E22rocblas_reduce_amin_6424rocblas_index_64_value_tIdElEviPT1_PT2_,"axG",@progbits,_ZL35rocblas_iamax_iamin_kernel_part2_64ILi1024E22rocblas_reduce_amin_6424rocblas_index_64_value_tIdElEviPT1_PT2_,comdat
	.globl	_ZL35rocblas_iamax_iamin_kernel_part2_64ILi1024E22rocblas_reduce_amin_6424rocblas_index_64_value_tIdElEviPT1_PT2_ ; -- Begin function _ZL35rocblas_iamax_iamin_kernel_part2_64ILi1024E22rocblas_reduce_amin_6424rocblas_index_64_value_tIdElEviPT1_PT2_
	.p2align	8
	.type	_ZL35rocblas_iamax_iamin_kernel_part2_64ILi1024E22rocblas_reduce_amin_6424rocblas_index_64_value_tIdElEviPT1_PT2_,@function
_ZL35rocblas_iamax_iamin_kernel_part2_64ILi1024E22rocblas_reduce_amin_6424rocblas_index_64_value_tIdElEviPT1_PT2_: ; @_ZL35rocblas_iamax_iamin_kernel_part2_64ILi1024E22rocblas_reduce_amin_6424rocblas_index_64_value_tIdElEviPT1_PT2_
; %bb.0:
	s_load_dword s7, s[4:5], 0x0
	s_load_dwordx4 s[8:11], s[4:5], 0x8
	v_mov_b32_e32 v1, 0
	v_mov_b32_e32 v2, 0
	s_waitcnt lgkmcnt(0)
	v_cmp_gt_i32_e32 vcc, s7, v0
	s_and_saveexec_b64 s[2:3], vcc
	s_cbranch_execz .LBB13_10
; %bb.1:
	s_mul_hi_u32 s1, s7, s6
	s_mul_i32 s0, s7, s6
	s_lshl_b64 s[0:1], s[0:1], 4
	s_add_u32 s4, s8, s0
	s_addc_u32 s5, s9, s1
	v_lshlrev_b32_e32 v5, 4, v0
	global_load_dwordx4 v[1:4], v5, s[4:5]
	v_or_b32_e32 v11, 0x400, v0
	v_cmp_gt_u32_e32 vcc, s7, v11
	s_and_saveexec_b64 s[4:5], vcc
	s_cbranch_execz .LBB13_9
; %bb.2:
	s_add_u32 s0, s8, s0
	s_addc_u32 s1, s9, s1
	v_mov_b32_e32 v6, s1
	v_add_co_u32_e32 v5, vcc, s0, v5
	v_addc_co_u32_e32 v6, vcc, 0, v6, vcc
	v_add_co_u32_e32 v5, vcc, 0x4008, v5
	v_addc_co_u32_e32 v6, vcc, 0, v6, vcc
	s_mov_b64 s[8:9], 0
	s_branch .LBB13_5
.LBB13_3:                               ;   in Loop: Header=BB13_5 Depth=1
	s_or_b64 exec, exec, s[14:15]
	v_mov_b32_e32 v1, v7
	v_mov_b32_e32 v3, v9
	;; [unrolled: 1-line block ×4, first 2 shown]
.LBB13_4:                               ;   in Loop: Header=BB13_5 Depth=1
	s_or_b64 exec, exec, s[12:13]
	v_add_u32_e32 v11, 0x400, v11
	v_add_co_u32_e32 v5, vcc, 0x4000, v5
	v_cmp_le_i32_e64 s[0:1], s7, v11
	s_or_b64 s[8:9], s[0:1], s[8:9]
	v_addc_co_u32_e32 v6, vcc, 0, v6, vcc
	s_andn2_b64 exec, exec, s[8:9]
	s_cbranch_execz .LBB13_8
.LBB13_5:                               ; =>This Inner Loop Header: Depth=1
	global_load_dwordx2 v[7:8], v[5:6], off offset:-8
	s_waitcnt vmcnt(0)
	v_cmp_ne_u64_e32 vcc, 0, v[7:8]
	s_and_saveexec_b64 s[12:13], vcc
	s_cbranch_execz .LBB13_4
; %bb.6:                                ;   in Loop: Header=BB13_5 Depth=1
	global_load_dwordx2 v[9:10], v[5:6], off
	v_cmp_ne_u64_e64 s[0:1], 0, v[1:2]
	s_waitcnt vmcnt(0)
	v_cmp_nlt_f64_e32 vcc, v[9:10], v[3:4]
	s_and_b64 s[0:1], s[0:1], vcc
	s_and_saveexec_b64 s[14:15], s[0:1]
	s_cbranch_execz .LBB13_3
; %bb.7:                                ;   in Loop: Header=BB13_5 Depth=1
	v_cmp_eq_f64_e64 s[0:1], v[3:4], v[9:10]
	v_cmp_lt_i64_e32 vcc, v[7:8], v[1:2]
	v_mov_b32_e32 v10, v4
	v_cndmask_b32_e32 v8, v2, v8, vcc
	v_mov_b32_e32 v9, v3
	s_and_b64 vcc, s[0:1], vcc
	v_cndmask_b32_e64 v8, v2, v8, s[0:1]
	v_cndmask_b32_e32 v7, v1, v7, vcc
	s_branch .LBB13_3
.LBB13_8:
	s_or_b64 exec, exec, s[8:9]
.LBB13_9:
	s_or_b64 exec, exec, s[4:5]
.LBB13_10:
	s_or_b64 exec, exec, s[2:3]
	v_and_b32_e32 v14, 63, v0
	v_cmp_gt_u32_e32 vcc, 64, v0
	v_lshlrev_b32_e32 v13, 4, v14
	s_and_saveexec_b64 s[0:1], vcc
; %bb.11:
	v_mov_b32_e32 v5, 0
	v_mov_b32_e32 v6, v5
	;; [unrolled: 1-line block ×4, first 2 shown]
	ds_write_b128 v13, v[5:8]
; %bb.12:
	s_or_b64 exec, exec, s[0:1]
	v_mbcnt_lo_u32_b32 v5, -1, 0
	v_mbcnt_hi_u32_b32 v15, -1, v5
	v_mov_b32_e32 v5, 0x80
	v_lshl_or_b32 v5, v15, 2, v5
	s_waitcnt vmcnt(0)
	ds_bpermute_b32 v7, v5, v1
	ds_bpermute_b32 v8, v5, v2
	;; [unrolled: 1-line block ×4, first 2 shown]
	v_mov_b32_e32 v6, v4
	v_mov_b32_e32 v5, v3
	s_waitcnt lgkmcnt(2)
	v_cmp_ne_u64_e64 s[0:1], 0, v[7:8]
	s_waitcnt lgkmcnt(0)
	s_barrier
	s_and_saveexec_b64 s[4:5], s[0:1]
	s_cbranch_execz .LBB13_16
; %bb.13:
	v_cmp_ngt_f64_e64 s[0:1], v[3:4], v[9:10]
	v_cmp_ne_u64_e64 s[2:3], 0, v[1:2]
	v_mov_b32_e32 v5, v9
	v_mov_b32_e32 v6, v10
	s_and_b64 s[0:1], s[2:3], s[0:1]
	s_and_saveexec_b64 s[8:9], s[0:1]
	s_cbranch_execz .LBB13_15
; %bb.14:
	v_cmp_eq_f64_e64 s[2:3], v[3:4], v[9:10]
	v_cmp_lt_i64_e64 s[0:1], v[7:8], v[1:2]
	v_mov_b32_e32 v6, v4
	v_cndmask_b32_e64 v8, v2, v8, s[0:1]
	v_mov_b32_e32 v5, v3
	v_mov_b32_e32 v9, v3
	;; [unrolled: 1-line block ×3, first 2 shown]
	s_and_b64 s[0:1], s[2:3], s[0:1]
	v_cndmask_b32_e64 v8, v2, v8, s[2:3]
	v_cndmask_b32_e64 v7, v1, v7, s[0:1]
.LBB13_15:
	s_or_b64 exec, exec, s[8:9]
	v_mov_b32_e32 v1, v7
	v_mov_b32_e32 v4, v10
	;; [unrolled: 1-line block ×4, first 2 shown]
.LBB13_16:
	s_or_b64 exec, exec, s[4:5]
	v_and_b32_e32 v19, 63, v15
	v_cmp_gt_u32_e64 s[0:1], 48, v19
	v_cndmask_b32_e64 v7, 0, 16, s[0:1]
	v_add_lshl_u32 v10, v7, v15, 2
	ds_bpermute_b32 v7, v10, v1
	ds_bpermute_b32 v8, v10, v2
	;; [unrolled: 1-line block ×4, first 2 shown]
	s_waitcnt lgkmcnt(2)
	v_cmp_ne_u64_e64 s[0:1], 0, v[7:8]
	s_and_saveexec_b64 s[4:5], s[0:1]
	s_cbranch_execz .LBB13_20
; %bb.17:
	s_waitcnt lgkmcnt(0)
	v_cmp_ngt_f64_e64 s[0:1], v[5:6], v[9:10]
	v_cmp_ne_u64_e64 s[2:3], 0, v[1:2]
	v_mov_b32_e32 v12, v10
	v_mov_b32_e32 v11, v9
	s_and_b64 s[0:1], s[2:3], s[0:1]
	s_and_saveexec_b64 s[8:9], s[0:1]
	s_cbranch_execz .LBB13_19
; %bb.18:
	v_cmp_eq_f64_e64 s[2:3], v[5:6], v[9:10]
	v_cmp_lt_i64_e64 s[0:1], v[7:8], v[1:2]
	v_mov_b32_e32 v12, v6
	v_cndmask_b32_e64 v8, v2, v8, s[0:1]
	v_mov_b32_e32 v11, v5
	v_mov_b32_e32 v9, v3
	v_mov_b32_e32 v10, v4
	s_and_b64 s[0:1], s[2:3], s[0:1]
	v_cndmask_b32_e64 v8, v2, v8, s[2:3]
	v_cndmask_b32_e64 v7, v1, v7, s[0:1]
.LBB13_19:
	s_or_b64 exec, exec, s[8:9]
	v_mov_b32_e32 v1, v7
	v_mov_b32_e32 v5, v11
	v_mov_b32_e32 v4, v10
	v_mov_b32_e32 v3, v9
	v_mov_b32_e32 v2, v8
	v_mov_b32_e32 v6, v12
.LBB13_20:
	s_or_b64 exec, exec, s[4:5]
	v_cmp_gt_u32_e64 s[0:1], 56, v19
	v_cndmask_b32_e64 v7, 0, 8, s[0:1]
	v_add_lshl_u32 v16, v7, v15, 2
	ds_bpermute_b32 v7, v16, v1
	ds_bpermute_b32 v8, v16, v2
	s_waitcnt lgkmcnt(3)
	ds_bpermute_b32 v9, v16, v3
	s_waitcnt lgkmcnt(3)
	ds_bpermute_b32 v10, v16, v4
	s_waitcnt lgkmcnt(2)
	v_cmp_ne_u64_e64 s[0:1], 0, v[7:8]
	s_and_saveexec_b64 s[4:5], s[0:1]
	s_cbranch_execz .LBB13_24
; %bb.21:
	s_waitcnt lgkmcnt(0)
	v_cmp_ngt_f64_e64 s[0:1], v[5:6], v[9:10]
	v_cmp_ne_u64_e64 s[2:3], 0, v[1:2]
	v_mov_b32_e32 v12, v10
	v_mov_b32_e32 v11, v9
	s_and_b64 s[0:1], s[2:3], s[0:1]
	s_and_saveexec_b64 s[8:9], s[0:1]
	s_cbranch_execz .LBB13_23
; %bb.22:
	v_cmp_eq_f64_e64 s[2:3], v[5:6], v[9:10]
	v_cmp_lt_i64_e64 s[0:1], v[7:8], v[1:2]
	v_mov_b32_e32 v12, v6
	v_cndmask_b32_e64 v8, v2, v8, s[0:1]
	v_mov_b32_e32 v11, v5
	v_mov_b32_e32 v9, v3
	v_mov_b32_e32 v10, v4
	s_and_b64 s[0:1], s[2:3], s[0:1]
	v_cndmask_b32_e64 v8, v2, v8, s[2:3]
	v_cndmask_b32_e64 v7, v1, v7, s[0:1]
.LBB13_23:
	s_or_b64 exec, exec, s[8:9]
	v_mov_b32_e32 v1, v7
	v_mov_b32_e32 v5, v11
	v_mov_b32_e32 v4, v10
	v_mov_b32_e32 v3, v9
	v_mov_b32_e32 v2, v8
	v_mov_b32_e32 v6, v12
.LBB13_24:
	s_or_b64 exec, exec, s[4:5]
	v_cmp_gt_u32_e64 s[0:1], 60, v19
	v_cndmask_b32_e64 v7, 0, 4, s[0:1]
	v_add_lshl_u32 v17, v7, v15, 2
	ds_bpermute_b32 v7, v17, v1
	ds_bpermute_b32 v8, v17, v2
	s_waitcnt lgkmcnt(3)
	ds_bpermute_b32 v9, v17, v3
	s_waitcnt lgkmcnt(3)
	ds_bpermute_b32 v10, v17, v4
	;; [unrolled: 43-line block ×3, first 2 shown]
	s_waitcnt lgkmcnt(2)
	v_cmp_ne_u64_e64 s[0:1], 0, v[7:8]
	s_and_saveexec_b64 s[4:5], s[0:1]
	s_cbranch_execz .LBB13_32
; %bb.29:
	s_waitcnt lgkmcnt(0)
	v_cmp_ngt_f64_e64 s[0:1], v[5:6], v[9:10]
	v_cmp_ne_u64_e64 s[2:3], 0, v[1:2]
	v_mov_b32_e32 v12, v10
	v_mov_b32_e32 v11, v9
	s_and_b64 s[0:1], s[2:3], s[0:1]
	s_and_saveexec_b64 s[8:9], s[0:1]
	s_cbranch_execz .LBB13_31
; %bb.30:
	v_cmp_eq_f64_e64 s[2:3], v[5:6], v[9:10]
	v_cmp_lt_i64_e64 s[0:1], v[7:8], v[1:2]
	v_mov_b32_e32 v12, v6
	v_cndmask_b32_e64 v8, v2, v8, s[0:1]
	v_mov_b32_e32 v11, v5
	v_mov_b32_e32 v9, v3
	;; [unrolled: 1-line block ×3, first 2 shown]
	s_and_b64 s[0:1], s[2:3], s[0:1]
	v_cndmask_b32_e64 v8, v2, v8, s[2:3]
	v_cndmask_b32_e64 v7, v1, v7, s[0:1]
.LBB13_31:
	s_or_b64 exec, exec, s[8:9]
	v_mov_b32_e32 v1, v7
	v_mov_b32_e32 v5, v11
	;; [unrolled: 1-line block ×6, first 2 shown]
.LBB13_32:
	s_or_b64 exec, exec, s[4:5]
	v_cmp_ne_u32_e64 s[0:1], 63, v19
	v_addc_co_u32_e64 v7, s[0:1], 0, v15, s[0:1]
	v_lshlrev_b32_e32 v15, 2, v7
	ds_bpermute_b32 v7, v15, v1
	ds_bpermute_b32 v8, v15, v2
	;; [unrolled: 1-line block ×3, first 2 shown]
	s_waitcnt lgkmcnt(4)
	ds_bpermute_b32 v9, v15, v4
	s_waitcnt lgkmcnt(2)
	v_cmp_ne_u64_e64 s[0:1], 0, v[7:8]
	s_and_saveexec_b64 s[12:13], s[0:1]
	s_cbranch_execz .LBB13_34
; %bb.33:
	s_waitcnt lgkmcnt(0)
	v_mov_b32_e32 v4, v9
	v_cmp_eq_f64_e64 s[0:1], v[5:6], v[3:4]
	v_cmp_gt_f64_e64 s[2:3], v[5:6], v[3:4]
	v_cmp_lt_i64_e64 s[4:5], v[7:8], v[1:2]
	v_cmp_eq_u64_e64 s[8:9], 0, v[1:2]
	s_and_b64 s[4:5], s[0:1], s[4:5]
	s_or_b64 s[0:1], s[8:9], s[2:3]
	s_or_b64 s[2:3], s[0:1], s[4:5]
	v_cndmask_b32_e64 v6, v6, v9, s[0:1]
	v_cndmask_b32_e64 v2, v2, v8, s[2:3]
	;; [unrolled: 1-line block ×4, first 2 shown]
.LBB13_34:
	s_or_b64 exec, exec, s[12:13]
	v_cmp_eq_u32_e64 s[0:1], 0, v14
	s_and_saveexec_b64 s[2:3], s[0:1]
	s_cbranch_execz .LBB13_36
; %bb.35:
	s_waitcnt lgkmcnt(1)
	v_lshrrev_b32_e32 v3, 2, v0
	v_and_b32_e32 v7, 0xf0, v3
	v_mov_b32_e32 v3, v5
	v_mov_b32_e32 v4, v6
	ds_write_b128 v7, v[1:4]
.LBB13_36:
	s_or_b64 exec, exec, s[2:3]
	s_waitcnt lgkmcnt(1)
	v_mov_b32_e32 v3, 0
	v_mov_b32_e32 v1, 0
	v_mov_b32_e32 v4, 0
	v_mov_b32_e32 v2, 0
	v_cmp_gt_u32_e64 s[0:1], 16, v0
	s_waitcnt lgkmcnt(0)
	s_barrier
	s_and_saveexec_b64 s[2:3], s[0:1]
; %bb.37:
	ds_read_b128 v[1:4], v13
; %bb.38:
	s_or_b64 exec, exec, s[2:3]
	s_and_saveexec_b64 s[8:9], vcc
	s_cbranch_execz .LBB13_54
; %bb.39:
	s_waitcnt lgkmcnt(0)
	ds_bpermute_b32 v7, v16, v1
	ds_bpermute_b32 v8, v16, v2
	;; [unrolled: 1-line block ×4, first 2 shown]
	v_mov_b32_e32 v6, v4
	v_mov_b32_e32 v5, v3
	s_waitcnt lgkmcnt(2)
	v_cmp_ne_u64_e32 vcc, 0, v[7:8]
	s_and_saveexec_b64 s[2:3], vcc
	s_cbranch_execz .LBB13_43
; %bb.40:
	s_waitcnt lgkmcnt(0)
	v_cmp_ngt_f64_e32 vcc, v[3:4], v[9:10]
	v_cmp_ne_u64_e64 s[0:1], 0, v[1:2]
	v_mov_b32_e32 v5, v9
	v_mov_b32_e32 v6, v10
	s_and_b64 s[0:1], s[0:1], vcc
	s_and_saveexec_b64 s[4:5], s[0:1]
	s_cbranch_execz .LBB13_42
; %bb.41:
	v_cmp_eq_f64_e64 s[0:1], v[3:4], v[9:10]
	v_cmp_lt_i64_e32 vcc, v[7:8], v[1:2]
	v_mov_b32_e32 v6, v4
	v_cndmask_b32_e32 v8, v2, v8, vcc
	v_mov_b32_e32 v5, v3
	v_mov_b32_e32 v9, v3
	;; [unrolled: 1-line block ×3, first 2 shown]
	s_and_b64 vcc, s[0:1], vcc
	v_cndmask_b32_e64 v8, v2, v8, s[0:1]
	v_cndmask_b32_e32 v7, v1, v7, vcc
.LBB13_42:
	s_or_b64 exec, exec, s[4:5]
	v_mov_b32_e32 v1, v7
	v_mov_b32_e32 v4, v10
	;; [unrolled: 1-line block ×4, first 2 shown]
.LBB13_43:
	s_or_b64 exec, exec, s[2:3]
	ds_bpermute_b32 v7, v17, v1
	ds_bpermute_b32 v8, v17, v2
	s_waitcnt lgkmcnt(3)
	ds_bpermute_b32 v9, v17, v3
	s_waitcnt lgkmcnt(3)
	;; [unrolled: 2-line block ×3, first 2 shown]
	v_cmp_ne_u64_e32 vcc, 0, v[7:8]
	s_and_saveexec_b64 s[2:3], vcc
	s_cbranch_execz .LBB13_47
; %bb.44:
	s_waitcnt lgkmcnt(0)
	v_cmp_ngt_f64_e32 vcc, v[5:6], v[9:10]
	v_cmp_ne_u64_e64 s[0:1], 0, v[1:2]
	v_mov_b32_e32 v12, v10
	v_mov_b32_e32 v11, v9
	s_and_b64 s[0:1], s[0:1], vcc
	s_and_saveexec_b64 s[4:5], s[0:1]
	s_cbranch_execz .LBB13_46
; %bb.45:
	v_cmp_eq_f64_e64 s[0:1], v[5:6], v[9:10]
	v_cmp_lt_i64_e32 vcc, v[7:8], v[1:2]
	v_mov_b32_e32 v12, v6
	v_cndmask_b32_e32 v8, v2, v8, vcc
	v_mov_b32_e32 v11, v5
	v_mov_b32_e32 v9, v3
	;; [unrolled: 1-line block ×3, first 2 shown]
	s_and_b64 vcc, s[0:1], vcc
	v_cndmask_b32_e64 v8, v2, v8, s[0:1]
	v_cndmask_b32_e32 v7, v1, v7, vcc
.LBB13_46:
	s_or_b64 exec, exec, s[4:5]
	v_mov_b32_e32 v1, v7
	v_mov_b32_e32 v5, v11
	;; [unrolled: 1-line block ×6, first 2 shown]
.LBB13_47:
	s_or_b64 exec, exec, s[2:3]
	ds_bpermute_b32 v7, v18, v1
	ds_bpermute_b32 v8, v18, v2
	s_waitcnt lgkmcnt(3)
	ds_bpermute_b32 v9, v18, v3
	s_waitcnt lgkmcnt(3)
	;; [unrolled: 2-line block ×3, first 2 shown]
	v_cmp_ne_u64_e32 vcc, 0, v[7:8]
	s_and_saveexec_b64 s[2:3], vcc
	s_cbranch_execz .LBB13_51
; %bb.48:
	s_waitcnt lgkmcnt(0)
	v_cmp_ngt_f64_e32 vcc, v[5:6], v[9:10]
	v_cmp_ne_u64_e64 s[0:1], 0, v[1:2]
	v_mov_b32_e32 v12, v10
	v_mov_b32_e32 v11, v9
	s_and_b64 s[0:1], s[0:1], vcc
	s_and_saveexec_b64 s[4:5], s[0:1]
	s_cbranch_execz .LBB13_50
; %bb.49:
	v_cmp_eq_f64_e64 s[0:1], v[5:6], v[9:10]
	v_cmp_lt_i64_e32 vcc, v[7:8], v[1:2]
	v_mov_b32_e32 v12, v6
	v_cndmask_b32_e32 v8, v2, v8, vcc
	v_mov_b32_e32 v11, v5
	v_mov_b32_e32 v9, v3
	;; [unrolled: 1-line block ×3, first 2 shown]
	s_and_b64 vcc, s[0:1], vcc
	v_cndmask_b32_e64 v8, v2, v8, s[0:1]
	v_cndmask_b32_e32 v7, v1, v7, vcc
.LBB13_50:
	s_or_b64 exec, exec, s[4:5]
	v_mov_b32_e32 v1, v7
	v_mov_b32_e32 v5, v11
	;; [unrolled: 1-line block ×6, first 2 shown]
.LBB13_51:
	s_or_b64 exec, exec, s[2:3]
	ds_bpermute_b32 v7, v15, v1
	ds_bpermute_b32 v8, v15, v2
	;; [unrolled: 1-line block ×4, first 2 shown]
	s_waitcnt lgkmcnt(2)
	v_cmp_ne_u64_e32 vcc, 0, v[7:8]
	s_and_saveexec_b64 s[12:13], vcc
	s_cbranch_execz .LBB13_53
; %bb.52:
	s_waitcnt lgkmcnt(0)
	v_cmp_gt_f64_e32 vcc, v[5:6], v[3:4]
	v_cmp_eq_f64_e64 s[0:1], v[5:6], v[3:4]
	v_cmp_eq_u64_e64 s[2:3], 0, v[1:2]
	v_cmp_lt_i64_e64 s[4:5], v[7:8], v[1:2]
	s_or_b64 s[2:3], s[2:3], vcc
	s_and_b64 s[0:1], s[0:1], s[4:5]
	s_or_b64 vcc, s[2:3], s[0:1]
	v_cndmask_b32_e32 v2, v2, v8, vcc
	v_cndmask_b32_e32 v1, v1, v7, vcc
.LBB13_53:
	s_or_b64 exec, exec, s[12:13]
.LBB13_54:
	s_or_b64 exec, exec, s[8:9]
	s_mov_b32 s7, 0
	v_cmp_eq_u32_e32 vcc, 0, v0
	s_and_saveexec_b64 s[0:1], vcc
	s_cbranch_execz .LBB13_56
; %bb.55:
	s_lshl_b64 s[0:1], s[6:7], 3
	s_add_u32 s0, s10, s0
	s_addc_u32 s1, s11, s1
	v_mov_b32_e32 v0, 0
	s_waitcnt lgkmcnt(0)
	global_store_dwordx2 v0, v[1:2], s[0:1]
.LBB13_56:
	s_endpgm
	.section	.rodata,"a",@progbits
	.p2align	6, 0x0
	.amdhsa_kernel _ZL35rocblas_iamax_iamin_kernel_part2_64ILi1024E22rocblas_reduce_amin_6424rocblas_index_64_value_tIdElEviPT1_PT2_
		.amdhsa_group_segment_fixed_size 1024
		.amdhsa_private_segment_fixed_size 0
		.amdhsa_kernarg_size 24
		.amdhsa_user_sgpr_count 6
		.amdhsa_user_sgpr_private_segment_buffer 1
		.amdhsa_user_sgpr_dispatch_ptr 0
		.amdhsa_user_sgpr_queue_ptr 0
		.amdhsa_user_sgpr_kernarg_segment_ptr 1
		.amdhsa_user_sgpr_dispatch_id 0
		.amdhsa_user_sgpr_flat_scratch_init 0
		.amdhsa_user_sgpr_private_segment_size 0
		.amdhsa_uses_dynamic_stack 0
		.amdhsa_system_sgpr_private_segment_wavefront_offset 0
		.amdhsa_system_sgpr_workgroup_id_x 1
		.amdhsa_system_sgpr_workgroup_id_y 0
		.amdhsa_system_sgpr_workgroup_id_z 0
		.amdhsa_system_sgpr_workgroup_info 0
		.amdhsa_system_vgpr_workitem_id 0
		.amdhsa_next_free_vgpr 20
		.amdhsa_next_free_sgpr 16
		.amdhsa_reserve_vcc 1
		.amdhsa_reserve_flat_scratch 0
		.amdhsa_float_round_mode_32 0
		.amdhsa_float_round_mode_16_64 0
		.amdhsa_float_denorm_mode_32 3
		.amdhsa_float_denorm_mode_16_64 3
		.amdhsa_dx10_clamp 1
		.amdhsa_ieee_mode 1
		.amdhsa_fp16_overflow 0
		.amdhsa_exception_fp_ieee_invalid_op 0
		.amdhsa_exception_fp_denorm_src 0
		.amdhsa_exception_fp_ieee_div_zero 0
		.amdhsa_exception_fp_ieee_overflow 0
		.amdhsa_exception_fp_ieee_underflow 0
		.amdhsa_exception_fp_ieee_inexact 0
		.amdhsa_exception_int_div_zero 0
	.end_amdhsa_kernel
	.section	.text._ZL35rocblas_iamax_iamin_kernel_part2_64ILi1024E22rocblas_reduce_amin_6424rocblas_index_64_value_tIdElEviPT1_PT2_,"axG",@progbits,_ZL35rocblas_iamax_iamin_kernel_part2_64ILi1024E22rocblas_reduce_amin_6424rocblas_index_64_value_tIdElEviPT1_PT2_,comdat
.Lfunc_end13:
	.size	_ZL35rocblas_iamax_iamin_kernel_part2_64ILi1024E22rocblas_reduce_amin_6424rocblas_index_64_value_tIdElEviPT1_PT2_, .Lfunc_end13-_ZL35rocblas_iamax_iamin_kernel_part2_64ILi1024E22rocblas_reduce_amin_6424rocblas_index_64_value_tIdElEviPT1_PT2_
                                        ; -- End function
	.set _ZL35rocblas_iamax_iamin_kernel_part2_64ILi1024E22rocblas_reduce_amin_6424rocblas_index_64_value_tIdElEviPT1_PT2_.num_vgpr, 20
	.set _ZL35rocblas_iamax_iamin_kernel_part2_64ILi1024E22rocblas_reduce_amin_6424rocblas_index_64_value_tIdElEviPT1_PT2_.num_agpr, 0
	.set _ZL35rocblas_iamax_iamin_kernel_part2_64ILi1024E22rocblas_reduce_amin_6424rocblas_index_64_value_tIdElEviPT1_PT2_.numbered_sgpr, 16
	.set _ZL35rocblas_iamax_iamin_kernel_part2_64ILi1024E22rocblas_reduce_amin_6424rocblas_index_64_value_tIdElEviPT1_PT2_.num_named_barrier, 0
	.set _ZL35rocblas_iamax_iamin_kernel_part2_64ILi1024E22rocblas_reduce_amin_6424rocblas_index_64_value_tIdElEviPT1_PT2_.private_seg_size, 0
	.set _ZL35rocblas_iamax_iamin_kernel_part2_64ILi1024E22rocblas_reduce_amin_6424rocblas_index_64_value_tIdElEviPT1_PT2_.uses_vcc, 1
	.set _ZL35rocblas_iamax_iamin_kernel_part2_64ILi1024E22rocblas_reduce_amin_6424rocblas_index_64_value_tIdElEviPT1_PT2_.uses_flat_scratch, 0
	.set _ZL35rocblas_iamax_iamin_kernel_part2_64ILi1024E22rocblas_reduce_amin_6424rocblas_index_64_value_tIdElEviPT1_PT2_.has_dyn_sized_stack, 0
	.set _ZL35rocblas_iamax_iamin_kernel_part2_64ILi1024E22rocblas_reduce_amin_6424rocblas_index_64_value_tIdElEviPT1_PT2_.has_recursion, 0
	.set _ZL35rocblas_iamax_iamin_kernel_part2_64ILi1024E22rocblas_reduce_amin_6424rocblas_index_64_value_tIdElEviPT1_PT2_.has_indirect_call, 0
	.section	.AMDGPU.csdata,"",@progbits
; Kernel info:
; codeLenInByte = 2384
; TotalNumSgprs: 20
; NumVgprs: 20
; ScratchSize: 0
; MemoryBound: 0
; FloatMode: 240
; IeeeMode: 1
; LDSByteSize: 1024 bytes/workgroup (compile time only)
; SGPRBlocks: 2
; VGPRBlocks: 4
; NumSGPRsForWavesPerEU: 20
; NumVGPRsForWavesPerEU: 20
; Occupancy: 10
; WaveLimiterHint : 0
; COMPUTE_PGM_RSRC2:SCRATCH_EN: 0
; COMPUTE_PGM_RSRC2:USER_SGPR: 6
; COMPUTE_PGM_RSRC2:TRAP_HANDLER: 0
; COMPUTE_PGM_RSRC2:TGID_X_EN: 1
; COMPUTE_PGM_RSRC2:TGID_Y_EN: 0
; COMPUTE_PGM_RSRC2:TGID_Z_EN: 0
; COMPUTE_PGM_RSRC2:TIDIG_COMP_CNT: 0
	.section	.text._ZL35rocblas_iamax_iamin_kernel_part1_64ILi1024E26rocblas_fetch_amax_amin_64IfE22rocblas_reduce_amin_64PK19rocblas_complex_numIfE24rocblas_index_64_value_tIfEEvlT2_lllPT3_,"axG",@progbits,_ZL35rocblas_iamax_iamin_kernel_part1_64ILi1024E26rocblas_fetch_amax_amin_64IfE22rocblas_reduce_amin_64PK19rocblas_complex_numIfE24rocblas_index_64_value_tIfEEvlT2_lllPT3_,comdat
	.globl	_ZL35rocblas_iamax_iamin_kernel_part1_64ILi1024E26rocblas_fetch_amax_amin_64IfE22rocblas_reduce_amin_64PK19rocblas_complex_numIfE24rocblas_index_64_value_tIfEEvlT2_lllPT3_ ; -- Begin function _ZL35rocblas_iamax_iamin_kernel_part1_64ILi1024E26rocblas_fetch_amax_amin_64IfE22rocblas_reduce_amin_64PK19rocblas_complex_numIfE24rocblas_index_64_value_tIfEEvlT2_lllPT3_
	.p2align	8
	.type	_ZL35rocblas_iamax_iamin_kernel_part1_64ILi1024E26rocblas_fetch_amax_amin_64IfE22rocblas_reduce_amin_64PK19rocblas_complex_numIfE24rocblas_index_64_value_tIfEEvlT2_lllPT3_,@function
_ZL35rocblas_iamax_iamin_kernel_part1_64ILi1024E26rocblas_fetch_amax_amin_64IfE22rocblas_reduce_amin_64PK19rocblas_complex_numIfE24rocblas_index_64_value_tIfEEvlT2_lllPT3_: ; @_ZL35rocblas_iamax_iamin_kernel_part1_64ILi1024E26rocblas_fetch_amax_amin_64IfE22rocblas_reduce_amin_64PK19rocblas_complex_numIfE24rocblas_index_64_value_tIfEEvlT2_lllPT3_
; %bb.0:
	s_load_dwordx8 s[20:27], s[4:5], 0x0
	s_load_dwordx4 s[16:19], s[4:5], 0x20
	s_mov_b32 s10, s7
	s_waitcnt lgkmcnt(0)
	v_cmp_lt_i64_e64 s[0:1], s[20:21], 1
	s_and_b64 vcc, exec, s[0:1]
	s_cbranch_vccnz .LBB14_53
; %bb.1:
	v_mbcnt_lo_u32_b32 v2, -1, 0
	v_mbcnt_hi_u32_b32 v2, -1, v2
	v_and_b32_e32 v3, 63, v2
	v_mov_b32_e32 v4, 0x80
	v_cmp_gt_u32_e32 vcc, 48, v3
	v_lshl_or_b32 v13, v2, 2, v4
	v_cndmask_b32_e64 v4, 0, 16, vcc
	v_cmp_gt_u32_e32 vcc, 56, v3
	v_add_lshl_u32 v14, v4, v2, 2
	v_cndmask_b32_e64 v4, 0, 8, vcc
	v_cmp_gt_u32_e32 vcc, 60, v3
	v_add_lshl_u32 v15, v4, v2, 2
	v_cndmask_b32_e64 v4, 0, 4, vcc
	v_cmp_gt_u32_e32 vcc, 62, v3
	v_and_b32_e32 v1, 63, v0
	v_add_lshl_u32 v16, v4, v2, 2
	v_cndmask_b32_e64 v4, 0, 2, vcc
	v_cmp_ne_u32_e32 vcc, 63, v3
	v_lshlrev_b32_e32 v12, 4, v1
	v_add_lshl_u32 v17, v4, v2, 2
	v_addc_co_u32_e32 v2, vcc, 0, v2, vcc
	v_cmp_eq_u32_e64 s[2:3], 0, v1
	v_lshrrev_b32_e32 v1, 2, v0
	v_lshl_or_b32 v20, s6, 10, v0
	v_lshlrev_b32_e32 v18, 2, v2
	s_load_dword s7, s[4:5], 0x30
	v_and_b32_e32 v19, 0xf0, v1
	v_mad_u64_u32 v[1:2], s[12:13], s26, v20, 0
	s_mul_i32 s11, s17, s10
	s_mul_hi_u32 s12, s16, s10
	s_add_i32 s13, s12, s11
	v_mad_u64_u32 v[2:3], s[14:15], s27, v20, v[2:3]
	s_mul_i32 s12, s16, s10
	s_waitcnt lgkmcnt(0)
	s_lshl_b32 s7, s7, 10
	s_lshl_b64 s[12:13], s[12:13], 3
	s_lshl_b64 s[14:15], s[24:25], 3
	s_add_u32 s11, s22, s14
	s_addc_u32 s14, s23, s15
	v_lshlrev_b64 v[1:2], 3, v[1:2]
	s_add_u32 s11, s11, s12
	s_addc_u32 s12, s14, s13
	v_mov_b32_e32 v3, s12
	v_add_co_u32_e64 v1, s[12:13], s11, v1
	v_addc_co_u32_e64 v2, s[12:13], v3, v2, s[12:13]
	v_add_co_u32_e64 v6, s[12:13], 4, v1
	v_addc_co_u32_e64 v7, s[12:13], 0, v2, s[12:13]
	s_mul_i32 s11, s27, s7
	s_mul_hi_u32 s12, s26, s7
	v_cmp_ne_u32_e32 vcc, 0, v0
	s_add_i32 s13, s12, s11
	s_mul_i32 s12, s26, s7
	v_mov_b32_e32 v1, 0
	v_cmp_gt_u32_e64 s[0:1], 64, v0
	v_cmp_gt_u32_e64 s[8:9], 16, v0
	v_mov_b32_e32 v4, 0
	s_lshl_b64 s[22:23], s[12:13], 3
	s_mov_b64 s[24:25], 0
	v_mov_b32_e32 v2, 0
	s_xor_b64 s[26:27], vcc, -1
                                        ; implicit-def: $vgpr21
	s_branch .LBB14_4
.LBB14_2:                               ;   in Loop: Header=BB14_4 Depth=1
	s_or_b64 exec, exec, s[16:17]
	v_mov_b32_e32 v1, v8
	v_mov_b32_e32 v2, v9
	v_mov_b32_e32 v3, v5
.LBB14_3:                               ;   in Loop: Header=BB14_4 Depth=1
	s_or_b64 exec, exec, s[14:15]
	s_add_u32 s24, s24, s7
	v_mov_b32_e32 v8, s20
	s_addc_u32 s25, s25, 0
	v_mov_b32_e32 v9, s21
	v_cmp_ge_i64_e32 vcc, s[24:25], v[8:9]
	v_mov_b32_e32 v5, s23
	v_add_co_u32_e64 v6, s[12:13], s22, v6
	v_addc_co_u32_e64 v7, s[12:13], v7, v5, s[12:13]
	s_cbranch_vccnz .LBB14_54
.LBB14_4:                               ; =>This Inner Loop Header: Depth=1
	v_mov_b32_e32 v5, s25
	v_add_co_u32_e32 v10, vcc, s24, v20
	v_addc_co_u32_e32 v11, vcc, 0, v5, vcc
	v_cmp_gt_i64_e32 vcc, s[20:21], v[10:11]
	v_mov_b32_e32 v8, 0
	v_mov_b32_e32 v9, 0
	s_and_saveexec_b64 s[12:13], vcc
	s_cbranch_execz .LBB14_6
; %bb.5:                                ;   in Loop: Header=BB14_4 Depth=1
	s_waitcnt lgkmcnt(0)
	global_load_dwordx2 v[21:22], v[6:7], off offset:-4
	v_add_co_u32_e32 v8, vcc, 1, v10
	v_addc_co_u32_e32 v9, vcc, 0, v11, vcc
	s_waitcnt vmcnt(0)
	v_cmp_gt_f32_e32 vcc, 0, v21
	v_cndmask_b32_e64 v5, v21, -v21, vcc
	v_cmp_gt_f32_e32 vcc, 0, v22
	v_cndmask_b32_e64 v10, v22, -v22, vcc
	v_add_f32_e32 v21, v5, v10
.LBB14_6:                               ;   in Loop: Header=BB14_4 Depth=1
	s_or_b64 exec, exec, s[12:13]
	s_and_saveexec_b64 s[12:13], s[0:1]
	s_cbranch_execz .LBB14_8
; %bb.7:                                ;   in Loop: Header=BB14_4 Depth=1
	v_mov_b32_e32 v5, v4
	ds_write_b64 v12, v[4:5]
	ds_write_b32 v12, v4 offset:8
.LBB14_8:                               ;   in Loop: Header=BB14_4 Depth=1
	s_or_b64 exec, exec, s[12:13]
	ds_bpermute_b32 v10, v13, v8
	ds_bpermute_b32 v11, v13, v9
	s_waitcnt lgkmcnt(2)
	ds_bpermute_b32 v22, v13, v21
	v_mov_b32_e32 v5, v21
	s_waitcnt lgkmcnt(0)
	s_barrier
	v_cmp_ne_u64_e32 vcc, 0, v[10:11]
	s_and_saveexec_b64 s[14:15], vcc
	s_cbranch_execz .LBB14_12
; %bb.9:                                ;   in Loop: Header=BB14_4 Depth=1
	v_cmp_ne_u64_e32 vcc, 0, v[8:9]
	v_cmp_ngt_f32_e64 s[12:13], v21, v22
	s_and_b64 s[12:13], vcc, s[12:13]
	s_and_saveexec_b64 s[16:17], s[12:13]
; %bb.10:                               ;   in Loop: Header=BB14_4 Depth=1
	v_cmp_lt_i64_e32 vcc, v[10:11], v[8:9]
	v_cmp_eq_f32_e64 s[12:13], v21, v22
	v_cndmask_b32_e32 v5, v9, v11, vcc
	s_and_b64 vcc, s[12:13], vcc
	v_cndmask_b32_e64 v11, v9, v5, s[12:13]
	v_cndmask_b32_e32 v10, v8, v10, vcc
	v_mov_b32_e32 v22, v21
; %bb.11:                               ;   in Loop: Header=BB14_4 Depth=1
	s_or_b64 exec, exec, s[16:17]
	v_mov_b32_e32 v8, v10
	v_mov_b32_e32 v21, v22
	;; [unrolled: 1-line block ×4, first 2 shown]
.LBB14_12:                              ;   in Loop: Header=BB14_4 Depth=1
	s_or_b64 exec, exec, s[14:15]
	ds_bpermute_b32 v10, v14, v8
	ds_bpermute_b32 v11, v14, v9
	;; [unrolled: 1-line block ×3, first 2 shown]
	s_waitcnt lgkmcnt(1)
	v_cmp_ne_u64_e32 vcc, 0, v[10:11]
	s_and_saveexec_b64 s[14:15], vcc
	s_cbranch_execz .LBB14_16
; %bb.13:                               ;   in Loop: Header=BB14_4 Depth=1
	v_cmp_ne_u64_e32 vcc, 0, v[8:9]
	s_waitcnt lgkmcnt(0)
	v_cmp_ngt_f32_e64 s[12:13], v5, v22
	s_and_b64 s[12:13], vcc, s[12:13]
	v_mov_b32_e32 v23, v22
	s_and_saveexec_b64 s[16:17], s[12:13]
; %bb.14:                               ;   in Loop: Header=BB14_4 Depth=1
	v_cmp_lt_i64_e32 vcc, v[10:11], v[8:9]
	v_cmp_eq_f32_e64 s[12:13], v5, v22
	v_cndmask_b32_e32 v11, v9, v11, vcc
	s_and_b64 vcc, s[12:13], vcc
	v_cndmask_b32_e64 v11, v9, v11, s[12:13]
	v_cndmask_b32_e32 v10, v8, v10, vcc
	v_mov_b32_e32 v23, v5
	v_mov_b32_e32 v22, v21
; %bb.15:                               ;   in Loop: Header=BB14_4 Depth=1
	s_or_b64 exec, exec, s[16:17]
	v_mov_b32_e32 v8, v10
	v_mov_b32_e32 v21, v22
	v_mov_b32_e32 v9, v11
	v_mov_b32_e32 v5, v23
.LBB14_16:                              ;   in Loop: Header=BB14_4 Depth=1
	s_or_b64 exec, exec, s[14:15]
	ds_bpermute_b32 v10, v15, v8
	ds_bpermute_b32 v11, v15, v9
	s_waitcnt lgkmcnt(2)
	ds_bpermute_b32 v22, v15, v21
	s_waitcnt lgkmcnt(1)
	v_cmp_ne_u64_e32 vcc, 0, v[10:11]
	s_and_saveexec_b64 s[14:15], vcc
	s_cbranch_execz .LBB14_20
; %bb.17:                               ;   in Loop: Header=BB14_4 Depth=1
	v_cmp_ne_u64_e32 vcc, 0, v[8:9]
	s_waitcnt lgkmcnt(0)
	v_cmp_ngt_f32_e64 s[12:13], v5, v22
	s_and_b64 s[12:13], vcc, s[12:13]
	v_mov_b32_e32 v23, v22
	s_and_saveexec_b64 s[16:17], s[12:13]
; %bb.18:                               ;   in Loop: Header=BB14_4 Depth=1
	v_cmp_lt_i64_e32 vcc, v[10:11], v[8:9]
	v_cmp_eq_f32_e64 s[12:13], v5, v22
	v_cndmask_b32_e32 v11, v9, v11, vcc
	s_and_b64 vcc, s[12:13], vcc
	v_cndmask_b32_e64 v11, v9, v11, s[12:13]
	v_cndmask_b32_e32 v10, v8, v10, vcc
	v_mov_b32_e32 v23, v5
	v_mov_b32_e32 v22, v21
; %bb.19:                               ;   in Loop: Header=BB14_4 Depth=1
	s_or_b64 exec, exec, s[16:17]
	v_mov_b32_e32 v8, v10
	v_mov_b32_e32 v21, v22
	v_mov_b32_e32 v9, v11
	v_mov_b32_e32 v5, v23
.LBB14_20:                              ;   in Loop: Header=BB14_4 Depth=1
	s_or_b64 exec, exec, s[14:15]
	ds_bpermute_b32 v10, v16, v8
	ds_bpermute_b32 v11, v16, v9
	s_waitcnt lgkmcnt(2)
	ds_bpermute_b32 v22, v16, v21
	;; [unrolled: 32-line block ×3, first 2 shown]
	s_waitcnt lgkmcnt(1)
	v_cmp_ne_u64_e32 vcc, 0, v[10:11]
	s_and_saveexec_b64 s[14:15], vcc
	s_cbranch_execz .LBB14_28
; %bb.25:                               ;   in Loop: Header=BB14_4 Depth=1
	v_cmp_ne_u64_e32 vcc, 0, v[8:9]
	s_waitcnt lgkmcnt(0)
	v_cmp_ngt_f32_e64 s[12:13], v5, v22
	s_and_b64 s[12:13], vcc, s[12:13]
	v_mov_b32_e32 v23, v22
	s_and_saveexec_b64 s[16:17], s[12:13]
; %bb.26:                               ;   in Loop: Header=BB14_4 Depth=1
	v_cmp_lt_i64_e32 vcc, v[10:11], v[8:9]
	v_cmp_eq_f32_e64 s[12:13], v5, v22
	v_cndmask_b32_e32 v11, v9, v11, vcc
	s_and_b64 vcc, s[12:13], vcc
	v_cndmask_b32_e64 v11, v9, v11, s[12:13]
	v_cndmask_b32_e32 v10, v8, v10, vcc
	v_mov_b32_e32 v23, v5
	v_mov_b32_e32 v22, v21
; %bb.27:                               ;   in Loop: Header=BB14_4 Depth=1
	s_or_b64 exec, exec, s[16:17]
	v_mov_b32_e32 v8, v10
	v_mov_b32_e32 v21, v22
	;; [unrolled: 1-line block ×4, first 2 shown]
.LBB14_28:                              ;   in Loop: Header=BB14_4 Depth=1
	s_or_b64 exec, exec, s[14:15]
	ds_bpermute_b32 v10, v18, v8
	ds_bpermute_b32 v11, v18, v9
	;; [unrolled: 1-line block ×3, first 2 shown]
	s_waitcnt lgkmcnt(1)
	v_cmp_ne_u64_e32 vcc, 0, v[10:11]
	s_and_saveexec_b64 s[28:29], vcc
	s_cbranch_execz .LBB14_30
; %bb.29:                               ;   in Loop: Header=BB14_4 Depth=1
	v_cmp_eq_u64_e32 vcc, 0, v[8:9]
	v_cmp_lt_i64_e64 s[14:15], v[10:11], v[8:9]
	s_waitcnt lgkmcnt(0)
	v_cmp_gt_f32_e64 s[12:13], v5, v21
	v_cmp_eq_f32_e64 s[16:17], v5, v21
	s_and_b64 s[14:15], s[16:17], s[14:15]
	s_or_b64 vcc, vcc, s[12:13]
	v_cndmask_b32_e64 v9, v9, v11, s[14:15]
	s_or_b64 s[12:13], vcc, s[14:15]
	v_cndmask_b32_e32 v9, v9, v11, vcc
	v_cndmask_b32_e64 v8, v8, v10, s[12:13]
	v_cndmask_b32_e32 v5, v5, v21, vcc
.LBB14_30:                              ;   in Loop: Header=BB14_4 Depth=1
	s_or_b64 exec, exec, s[28:29]
	s_and_saveexec_b64 s[12:13], s[2:3]
	s_cbranch_execz .LBB14_32
; %bb.31:                               ;   in Loop: Header=BB14_4 Depth=1
	ds_write_b64 v19, v[8:9]
	ds_write_b32 v19, v5 offset:8
.LBB14_32:                              ;   in Loop: Header=BB14_4 Depth=1
	s_or_b64 exec, exec, s[12:13]
	v_mov_b32_e32 v8, 0
	v_mov_b32_e32 v9, 0
	s_waitcnt lgkmcnt(0)
	v_mov_b32_e32 v21, 0
	s_barrier
	s_and_saveexec_b64 s[12:13], s[8:9]
	s_cbranch_execz .LBB14_34
; %bb.33:                               ;   in Loop: Header=BB14_4 Depth=1
	ds_read_b64 v[8:9], v12
	ds_read_b32 v21, v12 offset:8
.LBB14_34:                              ;   in Loop: Header=BB14_4 Depth=1
	s_or_b64 exec, exec, s[12:13]
	s_and_saveexec_b64 s[28:29], s[0:1]
	s_cbranch_execz .LBB14_50
; %bb.35:                               ;   in Loop: Header=BB14_4 Depth=1
	s_waitcnt lgkmcnt(1)
	ds_bpermute_b32 v10, v15, v8
	ds_bpermute_b32 v11, v15, v9
	s_waitcnt lgkmcnt(2)
	ds_bpermute_b32 v22, v15, v21
	v_mov_b32_e32 v5, v21
	s_waitcnt lgkmcnt(1)
	v_cmp_ne_u64_e32 vcc, 0, v[10:11]
	s_and_saveexec_b64 s[14:15], vcc
	s_cbranch_execz .LBB14_39
; %bb.36:                               ;   in Loop: Header=BB14_4 Depth=1
	v_cmp_ne_u64_e32 vcc, 0, v[8:9]
	s_waitcnt lgkmcnt(0)
	v_cmp_ngt_f32_e64 s[12:13], v21, v22
	s_and_b64 s[12:13], vcc, s[12:13]
	s_and_saveexec_b64 s[16:17], s[12:13]
; %bb.37:                               ;   in Loop: Header=BB14_4 Depth=1
	v_cmp_lt_i64_e32 vcc, v[10:11], v[8:9]
	v_cmp_eq_f32_e64 s[12:13], v21, v22
	v_cndmask_b32_e32 v5, v9, v11, vcc
	s_and_b64 vcc, s[12:13], vcc
	v_cndmask_b32_e64 v11, v9, v5, s[12:13]
	v_cndmask_b32_e32 v10, v8, v10, vcc
	v_mov_b32_e32 v22, v21
; %bb.38:                               ;   in Loop: Header=BB14_4 Depth=1
	s_or_b64 exec, exec, s[16:17]
	v_mov_b32_e32 v8, v10
	v_mov_b32_e32 v21, v22
	;; [unrolled: 1-line block ×4, first 2 shown]
.LBB14_39:                              ;   in Loop: Header=BB14_4 Depth=1
	s_or_b64 exec, exec, s[14:15]
	ds_bpermute_b32 v10, v16, v8
	ds_bpermute_b32 v11, v16, v9
	s_waitcnt lgkmcnt(2)
	ds_bpermute_b32 v22, v16, v21
	s_waitcnt lgkmcnt(1)
	v_cmp_ne_u64_e32 vcc, 0, v[10:11]
	s_and_saveexec_b64 s[14:15], vcc
	s_cbranch_execz .LBB14_43
; %bb.40:                               ;   in Loop: Header=BB14_4 Depth=1
	v_cmp_ne_u64_e32 vcc, 0, v[8:9]
	s_waitcnt lgkmcnt(0)
	v_cmp_ngt_f32_e64 s[12:13], v5, v22
	s_and_b64 s[12:13], vcc, s[12:13]
	v_mov_b32_e32 v23, v22
	s_and_saveexec_b64 s[16:17], s[12:13]
; %bb.41:                               ;   in Loop: Header=BB14_4 Depth=1
	v_cmp_lt_i64_e32 vcc, v[10:11], v[8:9]
	v_cmp_eq_f32_e64 s[12:13], v5, v22
	v_cndmask_b32_e32 v11, v9, v11, vcc
	s_and_b64 vcc, s[12:13], vcc
	v_cndmask_b32_e64 v11, v9, v11, s[12:13]
	v_cndmask_b32_e32 v10, v8, v10, vcc
	v_mov_b32_e32 v23, v5
	v_mov_b32_e32 v22, v21
; %bb.42:                               ;   in Loop: Header=BB14_4 Depth=1
	s_or_b64 exec, exec, s[16:17]
	v_mov_b32_e32 v8, v10
	v_mov_b32_e32 v21, v22
	;; [unrolled: 1-line block ×4, first 2 shown]
.LBB14_43:                              ;   in Loop: Header=BB14_4 Depth=1
	s_or_b64 exec, exec, s[14:15]
	ds_bpermute_b32 v10, v17, v8
	ds_bpermute_b32 v11, v17, v9
	s_waitcnt lgkmcnt(2)
	ds_bpermute_b32 v22, v17, v21
	s_waitcnt lgkmcnt(1)
	v_cmp_ne_u64_e32 vcc, 0, v[10:11]
	s_and_saveexec_b64 s[14:15], vcc
	s_cbranch_execz .LBB14_47
; %bb.44:                               ;   in Loop: Header=BB14_4 Depth=1
	v_cmp_ne_u64_e32 vcc, 0, v[8:9]
	s_waitcnt lgkmcnt(0)
	v_cmp_ngt_f32_e64 s[12:13], v5, v22
	s_and_b64 s[12:13], vcc, s[12:13]
	v_mov_b32_e32 v23, v22
	s_and_saveexec_b64 s[16:17], s[12:13]
; %bb.45:                               ;   in Loop: Header=BB14_4 Depth=1
	v_cmp_lt_i64_e32 vcc, v[10:11], v[8:9]
	v_cmp_eq_f32_e64 s[12:13], v5, v22
	v_cndmask_b32_e32 v11, v9, v11, vcc
	s_and_b64 vcc, s[12:13], vcc
	v_cndmask_b32_e64 v11, v9, v11, s[12:13]
	v_cndmask_b32_e32 v10, v8, v10, vcc
	v_mov_b32_e32 v23, v5
	v_mov_b32_e32 v22, v21
; %bb.46:                               ;   in Loop: Header=BB14_4 Depth=1
	s_or_b64 exec, exec, s[16:17]
	v_mov_b32_e32 v8, v10
	v_mov_b32_e32 v21, v22
	;; [unrolled: 1-line block ×4, first 2 shown]
.LBB14_47:                              ;   in Loop: Header=BB14_4 Depth=1
	s_or_b64 exec, exec, s[14:15]
	ds_bpermute_b32 v10, v18, v8
	ds_bpermute_b32 v11, v18, v9
	;; [unrolled: 1-line block ×3, first 2 shown]
	s_waitcnt lgkmcnt(1)
	v_cmp_ne_u64_e32 vcc, 0, v[10:11]
	s_and_saveexec_b64 s[30:31], vcc
	s_cbranch_execz .LBB14_49
; %bb.48:                               ;   in Loop: Header=BB14_4 Depth=1
	v_cmp_eq_u64_e32 vcc, 0, v[8:9]
	v_cmp_lt_i64_e64 s[14:15], v[10:11], v[8:9]
	s_waitcnt lgkmcnt(0)
	v_cmp_gt_f32_e64 s[12:13], v5, v21
	v_cmp_eq_f32_e64 s[16:17], v5, v21
	s_and_b64 s[14:15], s[16:17], s[14:15]
	s_or_b64 vcc, vcc, s[12:13]
	v_cndmask_b32_e64 v9, v9, v11, s[14:15]
	s_or_b64 s[12:13], vcc, s[14:15]
	v_cndmask_b32_e32 v9, v9, v11, vcc
	v_cndmask_b32_e64 v8, v8, v10, s[12:13]
	v_cndmask_b32_e32 v5, v5, v21, vcc
.LBB14_49:                              ;   in Loop: Header=BB14_4 Depth=1
	s_or_b64 exec, exec, s[30:31]
	s_waitcnt lgkmcnt(0)
	v_mov_b32_e32 v21, v5
.LBB14_50:                              ;   in Loop: Header=BB14_4 Depth=1
	s_or_b64 exec, exec, s[28:29]
	s_waitcnt lgkmcnt(1)
	v_cmp_ne_u64_e32 vcc, 0, v[8:9]
	s_and_b64 s[12:13], s[26:27], vcc
	s_and_saveexec_b64 s[14:15], s[12:13]
	s_cbranch_execz .LBB14_3
; %bb.51:                               ;   in Loop: Header=BB14_4 Depth=1
	v_cmp_ne_u64_e32 vcc, 0, v[1:2]
	s_waitcnt lgkmcnt(0)
	v_cmp_nlt_f32_e64 s[12:13], v21, v3
	s_and_b64 s[12:13], vcc, s[12:13]
	v_mov_b32_e32 v5, v21
	s_and_saveexec_b64 s[16:17], s[12:13]
	s_cbranch_execz .LBB14_2
; %bb.52:                               ;   in Loop: Header=BB14_4 Depth=1
	v_cmp_lt_i64_e32 vcc, v[8:9], v[1:2]
	v_cmp_eq_f32_e64 s[12:13], v3, v21
	v_cndmask_b32_e32 v5, v2, v9, vcc
	s_and_b64 vcc, s[12:13], vcc
	v_cndmask_b32_e64 v9, v2, v5, s[12:13]
	v_cndmask_b32_e32 v8, v1, v8, vcc
	v_mov_b32_e32 v5, v3
	s_branch .LBB14_2
.LBB14_53:
	v_mov_b32_e32 v1, 0
	v_mov_b32_e32 v2, 0
.LBB14_54:
	s_mov_b32 s7, 0
	v_cmp_eq_u32_e32 vcc, 0, v0
	s_and_saveexec_b64 s[0:1], vcc
	s_cbranch_execz .LBB14_56
; %bb.55:
	s_load_dword s0, s[4:5], 0x30
	v_mov_b32_e32 v0, 0
	s_waitcnt lgkmcnt(0)
	s_mul_hi_u32 s1, s0, s10
	s_mul_i32 s0, s0, s10
	s_lshl_b64 s[0:1], s[0:1], 4
	s_add_u32 s2, s18, s0
	s_addc_u32 s3, s19, s1
	s_lshl_b64 s[0:1], s[6:7], 4
	s_add_u32 s0, s2, s0
	s_addc_u32 s1, s3, s1
	global_store_dwordx3 v0, v[1:3], s[0:1]
.LBB14_56:
	s_endpgm
	.section	.rodata,"a",@progbits
	.p2align	6, 0x0
	.amdhsa_kernel _ZL35rocblas_iamax_iamin_kernel_part1_64ILi1024E26rocblas_fetch_amax_amin_64IfE22rocblas_reduce_amin_64PK19rocblas_complex_numIfE24rocblas_index_64_value_tIfEEvlT2_lllPT3_
		.amdhsa_group_segment_fixed_size 1024
		.amdhsa_private_segment_fixed_size 0
		.amdhsa_kernarg_size 304
		.amdhsa_user_sgpr_count 6
		.amdhsa_user_sgpr_private_segment_buffer 1
		.amdhsa_user_sgpr_dispatch_ptr 0
		.amdhsa_user_sgpr_queue_ptr 0
		.amdhsa_user_sgpr_kernarg_segment_ptr 1
		.amdhsa_user_sgpr_dispatch_id 0
		.amdhsa_user_sgpr_flat_scratch_init 0
		.amdhsa_user_sgpr_private_segment_size 0
		.amdhsa_uses_dynamic_stack 0
		.amdhsa_system_sgpr_private_segment_wavefront_offset 0
		.amdhsa_system_sgpr_workgroup_id_x 1
		.amdhsa_system_sgpr_workgroup_id_y 0
		.amdhsa_system_sgpr_workgroup_id_z 1
		.amdhsa_system_sgpr_workgroup_info 0
		.amdhsa_system_vgpr_workitem_id 0
		.amdhsa_next_free_vgpr 24
		.amdhsa_next_free_sgpr 32
		.amdhsa_reserve_vcc 1
		.amdhsa_reserve_flat_scratch 0
		.amdhsa_float_round_mode_32 0
		.amdhsa_float_round_mode_16_64 0
		.amdhsa_float_denorm_mode_32 3
		.amdhsa_float_denorm_mode_16_64 3
		.amdhsa_dx10_clamp 1
		.amdhsa_ieee_mode 1
		.amdhsa_fp16_overflow 0
		.amdhsa_exception_fp_ieee_invalid_op 0
		.amdhsa_exception_fp_denorm_src 0
		.amdhsa_exception_fp_ieee_div_zero 0
		.amdhsa_exception_fp_ieee_overflow 0
		.amdhsa_exception_fp_ieee_underflow 0
		.amdhsa_exception_fp_ieee_inexact 0
		.amdhsa_exception_int_div_zero 0
	.end_amdhsa_kernel
	.section	.text._ZL35rocblas_iamax_iamin_kernel_part1_64ILi1024E26rocblas_fetch_amax_amin_64IfE22rocblas_reduce_amin_64PK19rocblas_complex_numIfE24rocblas_index_64_value_tIfEEvlT2_lllPT3_,"axG",@progbits,_ZL35rocblas_iamax_iamin_kernel_part1_64ILi1024E26rocblas_fetch_amax_amin_64IfE22rocblas_reduce_amin_64PK19rocblas_complex_numIfE24rocblas_index_64_value_tIfEEvlT2_lllPT3_,comdat
.Lfunc_end14:
	.size	_ZL35rocblas_iamax_iamin_kernel_part1_64ILi1024E26rocblas_fetch_amax_amin_64IfE22rocblas_reduce_amin_64PK19rocblas_complex_numIfE24rocblas_index_64_value_tIfEEvlT2_lllPT3_, .Lfunc_end14-_ZL35rocblas_iamax_iamin_kernel_part1_64ILi1024E26rocblas_fetch_amax_amin_64IfE22rocblas_reduce_amin_64PK19rocblas_complex_numIfE24rocblas_index_64_value_tIfEEvlT2_lllPT3_
                                        ; -- End function
	.set _ZL35rocblas_iamax_iamin_kernel_part1_64ILi1024E26rocblas_fetch_amax_amin_64IfE22rocblas_reduce_amin_64PK19rocblas_complex_numIfE24rocblas_index_64_value_tIfEEvlT2_lllPT3_.num_vgpr, 24
	.set _ZL35rocblas_iamax_iamin_kernel_part1_64ILi1024E26rocblas_fetch_amax_amin_64IfE22rocblas_reduce_amin_64PK19rocblas_complex_numIfE24rocblas_index_64_value_tIfEEvlT2_lllPT3_.num_agpr, 0
	.set _ZL35rocblas_iamax_iamin_kernel_part1_64ILi1024E26rocblas_fetch_amax_amin_64IfE22rocblas_reduce_amin_64PK19rocblas_complex_numIfE24rocblas_index_64_value_tIfEEvlT2_lllPT3_.numbered_sgpr, 32
	.set _ZL35rocblas_iamax_iamin_kernel_part1_64ILi1024E26rocblas_fetch_amax_amin_64IfE22rocblas_reduce_amin_64PK19rocblas_complex_numIfE24rocblas_index_64_value_tIfEEvlT2_lllPT3_.num_named_barrier, 0
	.set _ZL35rocblas_iamax_iamin_kernel_part1_64ILi1024E26rocblas_fetch_amax_amin_64IfE22rocblas_reduce_amin_64PK19rocblas_complex_numIfE24rocblas_index_64_value_tIfEEvlT2_lllPT3_.private_seg_size, 0
	.set _ZL35rocblas_iamax_iamin_kernel_part1_64ILi1024E26rocblas_fetch_amax_amin_64IfE22rocblas_reduce_amin_64PK19rocblas_complex_numIfE24rocblas_index_64_value_tIfEEvlT2_lllPT3_.uses_vcc, 1
	.set _ZL35rocblas_iamax_iamin_kernel_part1_64ILi1024E26rocblas_fetch_amax_amin_64IfE22rocblas_reduce_amin_64PK19rocblas_complex_numIfE24rocblas_index_64_value_tIfEEvlT2_lllPT3_.uses_flat_scratch, 0
	.set _ZL35rocblas_iamax_iamin_kernel_part1_64ILi1024E26rocblas_fetch_amax_amin_64IfE22rocblas_reduce_amin_64PK19rocblas_complex_numIfE24rocblas_index_64_value_tIfEEvlT2_lllPT3_.has_dyn_sized_stack, 0
	.set _ZL35rocblas_iamax_iamin_kernel_part1_64ILi1024E26rocblas_fetch_amax_amin_64IfE22rocblas_reduce_amin_64PK19rocblas_complex_numIfE24rocblas_index_64_value_tIfEEvlT2_lllPT3_.has_recursion, 0
	.set _ZL35rocblas_iamax_iamin_kernel_part1_64ILi1024E26rocblas_fetch_amax_amin_64IfE22rocblas_reduce_amin_64PK19rocblas_complex_numIfE24rocblas_index_64_value_tIfEEvlT2_lllPT3_.has_indirect_call, 0
	.section	.AMDGPU.csdata,"",@progbits
; Kernel info:
; codeLenInByte = 2144
; TotalNumSgprs: 36
; NumVgprs: 24
; ScratchSize: 0
; MemoryBound: 0
; FloatMode: 240
; IeeeMode: 1
; LDSByteSize: 1024 bytes/workgroup (compile time only)
; SGPRBlocks: 4
; VGPRBlocks: 5
; NumSGPRsForWavesPerEU: 36
; NumVGPRsForWavesPerEU: 24
; Occupancy: 10
; WaveLimiterHint : 0
; COMPUTE_PGM_RSRC2:SCRATCH_EN: 0
; COMPUTE_PGM_RSRC2:USER_SGPR: 6
; COMPUTE_PGM_RSRC2:TRAP_HANDLER: 0
; COMPUTE_PGM_RSRC2:TGID_X_EN: 1
; COMPUTE_PGM_RSRC2:TGID_Y_EN: 0
; COMPUTE_PGM_RSRC2:TGID_Z_EN: 1
; COMPUTE_PGM_RSRC2:TIDIG_COMP_CNT: 0
	.section	.text._ZL35rocblas_iamax_iamin_kernel_part1_64ILi1024E26rocblas_fetch_amax_amin_64IdE22rocblas_reduce_amin_64PK19rocblas_complex_numIdE24rocblas_index_64_value_tIdEEvlT2_lllPT3_,"axG",@progbits,_ZL35rocblas_iamax_iamin_kernel_part1_64ILi1024E26rocblas_fetch_amax_amin_64IdE22rocblas_reduce_amin_64PK19rocblas_complex_numIdE24rocblas_index_64_value_tIdEEvlT2_lllPT3_,comdat
	.globl	_ZL35rocblas_iamax_iamin_kernel_part1_64ILi1024E26rocblas_fetch_amax_amin_64IdE22rocblas_reduce_amin_64PK19rocblas_complex_numIdE24rocblas_index_64_value_tIdEEvlT2_lllPT3_ ; -- Begin function _ZL35rocblas_iamax_iamin_kernel_part1_64ILi1024E26rocblas_fetch_amax_amin_64IdE22rocblas_reduce_amin_64PK19rocblas_complex_numIdE24rocblas_index_64_value_tIdEEvlT2_lllPT3_
	.p2align	8
	.type	_ZL35rocblas_iamax_iamin_kernel_part1_64ILi1024E26rocblas_fetch_amax_amin_64IdE22rocblas_reduce_amin_64PK19rocblas_complex_numIdE24rocblas_index_64_value_tIdEEvlT2_lllPT3_,@function
_ZL35rocblas_iamax_iamin_kernel_part1_64ILi1024E26rocblas_fetch_amax_amin_64IdE22rocblas_reduce_amin_64PK19rocblas_complex_numIdE24rocblas_index_64_value_tIdEEvlT2_lllPT3_: ; @_ZL35rocblas_iamax_iamin_kernel_part1_64ILi1024E26rocblas_fetch_amax_amin_64IdE22rocblas_reduce_amin_64PK19rocblas_complex_numIdE24rocblas_index_64_value_tIdEEvlT2_lllPT3_
; %bb.0:
	s_load_dwordx8 s[20:27], s[4:5], 0x0
	s_load_dwordx4 s[16:19], s[4:5], 0x20
	s_mov_b32 s10, s7
	s_waitcnt lgkmcnt(0)
	v_cmp_lt_i64_e64 s[0:1], s[20:21], 1
	s_and_b64 vcc, exec, s[0:1]
	s_cbranch_vccnz .LBB15_53
; %bb.1:
	v_mbcnt_lo_u32_b32 v2, -1, 0
	v_mbcnt_hi_u32_b32 v2, -1, v2
	v_and_b32_e32 v3, 63, v2
	v_mov_b32_e32 v4, 0x80
	v_cmp_gt_u32_e32 vcc, 48, v3
	v_lshl_or_b32 v22, v2, 2, v4
	v_cndmask_b32_e64 v4, 0, 16, vcc
	v_cmp_gt_u32_e32 vcc, 56, v3
	v_add_lshl_u32 v23, v4, v2, 2
	v_cndmask_b32_e64 v4, 0, 8, vcc
	v_cmp_gt_u32_e32 vcc, 60, v3
	v_add_lshl_u32 v24, v4, v2, 2
	v_cndmask_b32_e64 v4, 0, 4, vcc
	v_cmp_gt_u32_e32 vcc, 62, v3
	v_and_b32_e32 v1, 63, v0
	v_add_lshl_u32 v25, v4, v2, 2
	v_cndmask_b32_e64 v4, 0, 2, vcc
	v_cmp_ne_u32_e32 vcc, 63, v3
	v_lshlrev_b32_e32 v21, 4, v1
	v_add_lshl_u32 v26, v4, v2, 2
	v_addc_co_u32_e32 v2, vcc, 0, v2, vcc
	v_cmp_eq_u32_e64 s[2:3], 0, v1
	v_lshrrev_b32_e32 v1, 2, v0
	v_lshl_or_b32 v29, s6, 10, v0
	v_lshlrev_b32_e32 v27, 2, v2
	s_load_dword s7, s[4:5], 0x30
	v_and_b32_e32 v28, 0xf0, v1
	v_mad_u64_u32 v[1:2], s[12:13], s26, v29, 0
	s_mul_i32 s11, s17, s10
	s_mul_hi_u32 s12, s16, s10
	s_add_i32 s13, s12, s11
	v_mad_u64_u32 v[2:3], s[14:15], s27, v29, v[2:3]
	s_mul_i32 s12, s16, s10
	s_waitcnt lgkmcnt(0)
	s_lshl_b32 s7, s7, 10
	s_lshl_b64 s[12:13], s[12:13], 4
	s_lshl_b64 s[14:15], s[24:25], 4
	s_add_u32 s11, s22, s14
	s_addc_u32 s14, s23, s15
	v_lshlrev_b64 v[1:2], 4, v[1:2]
	s_add_u32 s11, s11, s12
	s_addc_u32 s12, s14, s13
	v_mov_b32_e32 v3, s12
	v_add_co_u32_e64 v1, s[12:13], s11, v1
	v_addc_co_u32_e64 v2, s[12:13], v3, v2, s[12:13]
	v_add_co_u32_e64 v15, s[12:13], 8, v1
	v_addc_co_u32_e64 v16, s[12:13], 0, v2, s[12:13]
	s_mul_i32 s11, s27, s7
	s_mul_hi_u32 s12, s26, s7
	v_cmp_ne_u32_e32 vcc, 0, v0
	s_add_i32 s13, s12, s11
	s_mul_i32 s12, s26, s7
	v_mov_b32_e32 v1, 0
	v_cmp_gt_u32_e64 s[0:1], 64, v0
	v_cmp_gt_u32_e64 s[8:9], 16, v0
	v_mov_b32_e32 v5, 0
	s_lshl_b64 s[22:23], s[12:13], 4
	s_mov_b64 s[24:25], 0
	v_mov_b32_e32 v2, 0
	s_xor_b64 s[26:27], vcc, -1
                                        ; implicit-def: $vgpr9_vgpr10
	s_branch .LBB15_4
.LBB15_2:                               ;   in Loop: Header=BB15_4 Depth=1
	s_or_b64 exec, exec, s[16:17]
	v_mov_b32_e32 v1, v7
	v_mov_b32_e32 v3, v11
	;; [unrolled: 1-line block ×4, first 2 shown]
.LBB15_3:                               ;   in Loop: Header=BB15_4 Depth=1
	s_or_b64 exec, exec, s[14:15]
	s_add_u32 s24, s24, s7
	v_mov_b32_e32 v6, s20
	s_addc_u32 s25, s25, 0
	v_mov_b32_e32 v7, s21
	v_cmp_ge_i64_e32 vcc, s[24:25], v[6:7]
	v_mov_b32_e32 v8, s23
	v_add_co_u32_e64 v15, s[12:13], s22, v15
	v_addc_co_u32_e64 v16, s[12:13], v16, v8, s[12:13]
	s_cbranch_vccnz .LBB15_54
.LBB15_4:                               ; =>This Inner Loop Header: Depth=1
	v_mov_b32_e32 v7, s25
	v_add_co_u32_e32 v6, vcc, s24, v29
	v_addc_co_u32_e32 v7, vcc, 0, v7, vcc
	v_cmp_gt_i64_e32 vcc, s[20:21], v[6:7]
	v_mov_b32_e32 v11, 0
	v_mov_b32_e32 v12, 0
	s_and_saveexec_b64 s[12:13], vcc
	s_cbranch_execz .LBB15_6
; %bb.5:                                ;   in Loop: Header=BB15_4 Depth=1
	global_load_dwordx4 v[8:11], v[15:16], off offset:-8
	s_waitcnt vmcnt(0)
	v_cmp_gt_f64_e32 vcc, 0, v[8:9]
	v_xor_b32_e32 v12, 0x80000000, v9
	v_xor_b32_e32 v13, 0x80000000, v11
	v_cndmask_b32_e32 v9, v9, v12, vcc
	v_cmp_gt_f64_e32 vcc, 0, v[10:11]
	v_cndmask_b32_e32 v11, v11, v13, vcc
	v_add_f64 v[9:10], v[8:9], v[10:11]
	v_add_co_u32_e32 v11, vcc, 1, v6
	v_addc_co_u32_e32 v12, vcc, 0, v7, vcc
.LBB15_6:                               ;   in Loop: Header=BB15_4 Depth=1
	s_or_b64 exec, exec, s[12:13]
	s_and_saveexec_b64 s[12:13], s[0:1]
; %bb.7:                                ;   in Loop: Header=BB15_4 Depth=1
	v_mov_b32_e32 v6, v5
	v_mov_b32_e32 v7, v5
	;; [unrolled: 1-line block ×3, first 2 shown]
	ds_write_b128 v21, v[5:8]
; %bb.8:                                ;   in Loop: Header=BB15_4 Depth=1
	s_or_b64 exec, exec, s[12:13]
	ds_bpermute_b32 v6, v22, v11
	ds_bpermute_b32 v7, v22, v12
	;; [unrolled: 1-line block ×4, first 2 shown]
	v_mov_b32_e32 v14, v10
	v_mov_b32_e32 v13, v9
	s_waitcnt lgkmcnt(2)
	v_cmp_ne_u64_e32 vcc, 0, v[6:7]
	s_waitcnt lgkmcnt(0)
	s_barrier
	s_and_saveexec_b64 s[14:15], vcc
	s_cbranch_execz .LBB15_12
; %bb.9:                                ;   in Loop: Header=BB15_4 Depth=1
	v_cmp_ngt_f64_e32 vcc, v[9:10], v[17:18]
	v_cmp_ne_u64_e64 s[12:13], 0, v[11:12]
	v_mov_b32_e32 v13, v17
	v_mov_b32_e32 v14, v18
	s_and_b64 s[12:13], s[12:13], vcc
	s_and_saveexec_b64 s[16:17], s[12:13]
	s_cbranch_execz .LBB15_11
; %bb.10:                               ;   in Loop: Header=BB15_4 Depth=1
	v_cmp_eq_f64_e64 s[12:13], v[9:10], v[17:18]
	v_cmp_lt_i64_e32 vcc, v[6:7], v[11:12]
	v_mov_b32_e32 v14, v10
	v_cndmask_b32_e32 v7, v12, v7, vcc
	v_mov_b32_e32 v13, v9
	v_mov_b32_e32 v17, v9
	;; [unrolled: 1-line block ×3, first 2 shown]
	s_and_b64 vcc, s[12:13], vcc
	v_cndmask_b32_e64 v7, v12, v7, s[12:13]
	v_cndmask_b32_e32 v6, v11, v6, vcc
.LBB15_11:                              ;   in Loop: Header=BB15_4 Depth=1
	s_or_b64 exec, exec, s[16:17]
	v_mov_b32_e32 v12, v7
	v_mov_b32_e32 v10, v18
	;; [unrolled: 1-line block ×4, first 2 shown]
.LBB15_12:                              ;   in Loop: Header=BB15_4 Depth=1
	s_or_b64 exec, exec, s[14:15]
	ds_bpermute_b32 v6, v23, v11
	ds_bpermute_b32 v7, v23, v12
	ds_bpermute_b32 v17, v23, v9
	ds_bpermute_b32 v18, v23, v10
	s_waitcnt lgkmcnt(2)
	v_cmp_ne_u64_e32 vcc, 0, v[6:7]
	s_and_saveexec_b64 s[14:15], vcc
	s_cbranch_execz .LBB15_16
; %bb.13:                               ;   in Loop: Header=BB15_4 Depth=1
	s_waitcnt lgkmcnt(0)
	v_cmp_ngt_f64_e32 vcc, v[13:14], v[17:18]
	v_cmp_ne_u64_e64 s[12:13], 0, v[11:12]
	v_mov_b32_e32 v20, v18
	v_mov_b32_e32 v19, v17
	s_and_b64 s[12:13], s[12:13], vcc
	s_and_saveexec_b64 s[16:17], s[12:13]
	s_cbranch_execz .LBB15_15
; %bb.14:                               ;   in Loop: Header=BB15_4 Depth=1
	v_cmp_eq_f64_e64 s[12:13], v[13:14], v[17:18]
	v_cmp_lt_i64_e32 vcc, v[6:7], v[11:12]
	v_mov_b32_e32 v20, v14
	v_cndmask_b32_e32 v7, v12, v7, vcc
	v_mov_b32_e32 v19, v13
	v_mov_b32_e32 v17, v9
	v_mov_b32_e32 v18, v10
	s_and_b64 vcc, s[12:13], vcc
	v_cndmask_b32_e64 v7, v12, v7, s[12:13]
	v_cndmask_b32_e32 v6, v11, v6, vcc
.LBB15_15:                              ;   in Loop: Header=BB15_4 Depth=1
	s_or_b64 exec, exec, s[16:17]
	v_mov_b32_e32 v12, v7
	v_mov_b32_e32 v13, v19
	v_mov_b32_e32 v10, v18
	v_mov_b32_e32 v9, v17
	v_mov_b32_e32 v11, v6
	v_mov_b32_e32 v14, v20
.LBB15_16:                              ;   in Loop: Header=BB15_4 Depth=1
	s_or_b64 exec, exec, s[14:15]
	ds_bpermute_b32 v6, v24, v11
	ds_bpermute_b32 v7, v24, v12
	s_waitcnt lgkmcnt(3)
	ds_bpermute_b32 v17, v24, v9
	s_waitcnt lgkmcnt(3)
	ds_bpermute_b32 v18, v24, v10
	s_waitcnt lgkmcnt(2)
	v_cmp_ne_u64_e32 vcc, 0, v[6:7]
	s_and_saveexec_b64 s[14:15], vcc
	s_cbranch_execz .LBB15_20
; %bb.17:                               ;   in Loop: Header=BB15_4 Depth=1
	s_waitcnt lgkmcnt(0)
	v_cmp_ngt_f64_e32 vcc, v[13:14], v[17:18]
	v_cmp_ne_u64_e64 s[12:13], 0, v[11:12]
	v_mov_b32_e32 v20, v18
	v_mov_b32_e32 v19, v17
	s_and_b64 s[12:13], s[12:13], vcc
	s_and_saveexec_b64 s[16:17], s[12:13]
	s_cbranch_execz .LBB15_19
; %bb.18:                               ;   in Loop: Header=BB15_4 Depth=1
	v_cmp_eq_f64_e64 s[12:13], v[13:14], v[17:18]
	v_cmp_lt_i64_e32 vcc, v[6:7], v[11:12]
	v_mov_b32_e32 v20, v14
	v_cndmask_b32_e32 v7, v12, v7, vcc
	v_mov_b32_e32 v19, v13
	v_mov_b32_e32 v17, v9
	v_mov_b32_e32 v18, v10
	s_and_b64 vcc, s[12:13], vcc
	v_cndmask_b32_e64 v7, v12, v7, s[12:13]
	v_cndmask_b32_e32 v6, v11, v6, vcc
.LBB15_19:                              ;   in Loop: Header=BB15_4 Depth=1
	s_or_b64 exec, exec, s[16:17]
	v_mov_b32_e32 v12, v7
	v_mov_b32_e32 v13, v19
	v_mov_b32_e32 v10, v18
	v_mov_b32_e32 v9, v17
	v_mov_b32_e32 v11, v6
	v_mov_b32_e32 v14, v20
.LBB15_20:                              ;   in Loop: Header=BB15_4 Depth=1
	s_or_b64 exec, exec, s[14:15]
	ds_bpermute_b32 v6, v25, v11
	ds_bpermute_b32 v7, v25, v12
	s_waitcnt lgkmcnt(3)
	ds_bpermute_b32 v17, v25, v9
	s_waitcnt lgkmcnt(3)
	ds_bpermute_b32 v18, v25, v10
	;; [unrolled: 40-line block ×3, first 2 shown]
	s_waitcnt lgkmcnt(2)
	v_cmp_ne_u64_e32 vcc, 0, v[6:7]
	s_and_saveexec_b64 s[14:15], vcc
	s_cbranch_execz .LBB15_28
; %bb.25:                               ;   in Loop: Header=BB15_4 Depth=1
	s_waitcnt lgkmcnt(0)
	v_cmp_ngt_f64_e32 vcc, v[13:14], v[17:18]
	v_cmp_ne_u64_e64 s[12:13], 0, v[11:12]
	v_mov_b32_e32 v20, v18
	v_mov_b32_e32 v19, v17
	s_and_b64 s[12:13], s[12:13], vcc
	s_and_saveexec_b64 s[16:17], s[12:13]
	s_cbranch_execz .LBB15_27
; %bb.26:                               ;   in Loop: Header=BB15_4 Depth=1
	v_cmp_eq_f64_e64 s[12:13], v[13:14], v[17:18]
	v_cmp_lt_i64_e32 vcc, v[6:7], v[11:12]
	v_mov_b32_e32 v20, v14
	v_cndmask_b32_e32 v7, v12, v7, vcc
	v_mov_b32_e32 v19, v13
	v_mov_b32_e32 v17, v9
	;; [unrolled: 1-line block ×3, first 2 shown]
	s_and_b64 vcc, s[12:13], vcc
	v_cndmask_b32_e64 v7, v12, v7, s[12:13]
	v_cndmask_b32_e32 v6, v11, v6, vcc
.LBB15_27:                              ;   in Loop: Header=BB15_4 Depth=1
	s_or_b64 exec, exec, s[16:17]
	v_mov_b32_e32 v12, v7
	v_mov_b32_e32 v13, v19
	;; [unrolled: 1-line block ×6, first 2 shown]
.LBB15_28:                              ;   in Loop: Header=BB15_4 Depth=1
	s_or_b64 exec, exec, s[14:15]
	ds_bpermute_b32 v6, v27, v11
	ds_bpermute_b32 v7, v27, v12
	;; [unrolled: 1-line block ×4, first 2 shown]
	s_waitcnt lgkmcnt(2)
	v_cmp_ne_u64_e32 vcc, 0, v[6:7]
	s_and_saveexec_b64 s[28:29], vcc
	s_cbranch_execz .LBB15_30
; %bb.29:                               ;   in Loop: Header=BB15_4 Depth=1
	s_waitcnt lgkmcnt(0)
	v_mov_b32_e32 v9, v10
	v_cmp_eq_f64_e32 vcc, v[13:14], v[8:9]
	v_cmp_gt_f64_e64 s[12:13], v[13:14], v[8:9]
	v_cmp_lt_i64_e64 s[14:15], v[6:7], v[11:12]
	v_cmp_eq_u64_e64 s[16:17], 0, v[11:12]
	s_and_b64 s[14:15], vcc, s[14:15]
	s_or_b64 vcc, s[16:17], s[12:13]
	s_or_b64 s[12:13], vcc, s[14:15]
	v_cndmask_b32_e32 v14, v14, v10, vcc
	v_cndmask_b32_e64 v12, v12, v7, s[12:13]
	v_cndmask_b32_e64 v11, v11, v6, s[12:13]
	v_cndmask_b32_e32 v13, v13, v8, vcc
.LBB15_30:                              ;   in Loop: Header=BB15_4 Depth=1
	s_or_b64 exec, exec, s[28:29]
	s_and_saveexec_b64 s[12:13], s[2:3]
; %bb.31:                               ;   in Loop: Header=BB15_4 Depth=1
	ds_write_b128 v28, v[11:14]
; %bb.32:                               ;   in Loop: Header=BB15_4 Depth=1
	s_or_b64 exec, exec, s[12:13]
	s_waitcnt lgkmcnt(0)
	v_mov_b32_e32 v9, 0
	v_mov_b32_e32 v7, 0
	v_mov_b32_e32 v10, 0
	v_mov_b32_e32 v8, 0
	s_barrier
	s_and_saveexec_b64 s[12:13], s[8:9]
; %bb.33:                               ;   in Loop: Header=BB15_4 Depth=1
	ds_read_b128 v[7:10], v21
; %bb.34:                               ;   in Loop: Header=BB15_4 Depth=1
	s_or_b64 exec, exec, s[12:13]
	s_and_saveexec_b64 s[28:29], s[0:1]
	s_cbranch_execz .LBB15_50
; %bb.35:                               ;   in Loop: Header=BB15_4 Depth=1
	s_waitcnt lgkmcnt(0)
	ds_bpermute_b32 v13, v24, v7
	ds_bpermute_b32 v14, v24, v8
	;; [unrolled: 1-line block ×4, first 2 shown]
	v_mov_b32_e32 v12, v10
	v_mov_b32_e32 v11, v9
	s_waitcnt lgkmcnt(2)
	v_cmp_ne_u64_e32 vcc, 0, v[13:14]
	s_and_saveexec_b64 s[14:15], vcc
	s_cbranch_execz .LBB15_39
; %bb.36:                               ;   in Loop: Header=BB15_4 Depth=1
	s_waitcnt lgkmcnt(0)
	v_cmp_ngt_f64_e32 vcc, v[9:10], v[17:18]
	v_cmp_ne_u64_e64 s[12:13], 0, v[7:8]
	v_mov_b32_e32 v11, v17
	v_mov_b32_e32 v12, v18
	s_and_b64 s[12:13], s[12:13], vcc
	s_and_saveexec_b64 s[16:17], s[12:13]
	s_cbranch_execz .LBB15_38
; %bb.37:                               ;   in Loop: Header=BB15_4 Depth=1
	v_cmp_eq_f64_e64 s[12:13], v[9:10], v[17:18]
	v_cmp_lt_i64_e32 vcc, v[13:14], v[7:8]
	v_mov_b32_e32 v12, v10
	v_cndmask_b32_e32 v6, v8, v14, vcc
	v_mov_b32_e32 v11, v9
	v_mov_b32_e32 v17, v9
	;; [unrolled: 1-line block ×3, first 2 shown]
	s_and_b64 vcc, s[12:13], vcc
	v_cndmask_b32_e64 v14, v8, v6, s[12:13]
	v_cndmask_b32_e32 v13, v7, v13, vcc
.LBB15_38:                              ;   in Loop: Header=BB15_4 Depth=1
	s_or_b64 exec, exec, s[16:17]
	v_mov_b32_e32 v7, v13
	v_mov_b32_e32 v10, v18
	v_mov_b32_e32 v9, v17
	v_mov_b32_e32 v8, v14
.LBB15_39:                              ;   in Loop: Header=BB15_4 Depth=1
	s_or_b64 exec, exec, s[14:15]
	ds_bpermute_b32 v13, v25, v7
	ds_bpermute_b32 v14, v25, v8
	s_waitcnt lgkmcnt(3)
	ds_bpermute_b32 v17, v25, v9
	s_waitcnt lgkmcnt(3)
	;; [unrolled: 2-line block ×3, first 2 shown]
	v_cmp_ne_u64_e32 vcc, 0, v[13:14]
	s_and_saveexec_b64 s[14:15], vcc
	s_cbranch_execz .LBB15_43
; %bb.40:                               ;   in Loop: Header=BB15_4 Depth=1
	s_waitcnt lgkmcnt(0)
	v_cmp_ngt_f64_e32 vcc, v[11:12], v[17:18]
	v_cmp_ne_u64_e64 s[12:13], 0, v[7:8]
	v_mov_b32_e32 v20, v18
	v_mov_b32_e32 v19, v17
	s_and_b64 s[12:13], s[12:13], vcc
	s_and_saveexec_b64 s[16:17], s[12:13]
	s_cbranch_execz .LBB15_42
; %bb.41:                               ;   in Loop: Header=BB15_4 Depth=1
	v_cmp_eq_f64_e64 s[12:13], v[11:12], v[17:18]
	v_cmp_lt_i64_e32 vcc, v[13:14], v[7:8]
	v_mov_b32_e32 v20, v12
	v_cndmask_b32_e32 v6, v8, v14, vcc
	v_mov_b32_e32 v19, v11
	v_mov_b32_e32 v17, v9
	;; [unrolled: 1-line block ×3, first 2 shown]
	s_and_b64 vcc, s[12:13], vcc
	v_cndmask_b32_e64 v14, v8, v6, s[12:13]
	v_cndmask_b32_e32 v13, v7, v13, vcc
.LBB15_42:                              ;   in Loop: Header=BB15_4 Depth=1
	s_or_b64 exec, exec, s[16:17]
	v_mov_b32_e32 v7, v13
	v_mov_b32_e32 v11, v19
	;; [unrolled: 1-line block ×6, first 2 shown]
.LBB15_43:                              ;   in Loop: Header=BB15_4 Depth=1
	s_or_b64 exec, exec, s[14:15]
	ds_bpermute_b32 v13, v26, v7
	ds_bpermute_b32 v14, v26, v8
	s_waitcnt lgkmcnt(3)
	ds_bpermute_b32 v17, v26, v9
	s_waitcnt lgkmcnt(3)
	;; [unrolled: 2-line block ×3, first 2 shown]
	v_cmp_ne_u64_e32 vcc, 0, v[13:14]
	s_and_saveexec_b64 s[14:15], vcc
	s_cbranch_execz .LBB15_47
; %bb.44:                               ;   in Loop: Header=BB15_4 Depth=1
	s_waitcnt lgkmcnt(0)
	v_cmp_ngt_f64_e32 vcc, v[11:12], v[17:18]
	v_cmp_ne_u64_e64 s[12:13], 0, v[7:8]
	v_mov_b32_e32 v20, v18
	v_mov_b32_e32 v19, v17
	s_and_b64 s[12:13], s[12:13], vcc
	s_and_saveexec_b64 s[16:17], s[12:13]
	s_cbranch_execz .LBB15_46
; %bb.45:                               ;   in Loop: Header=BB15_4 Depth=1
	v_cmp_eq_f64_e64 s[12:13], v[11:12], v[17:18]
	v_cmp_lt_i64_e32 vcc, v[13:14], v[7:8]
	v_mov_b32_e32 v20, v12
	v_cndmask_b32_e32 v6, v8, v14, vcc
	v_mov_b32_e32 v19, v11
	v_mov_b32_e32 v17, v9
	;; [unrolled: 1-line block ×3, first 2 shown]
	s_and_b64 vcc, s[12:13], vcc
	v_cndmask_b32_e64 v14, v8, v6, s[12:13]
	v_cndmask_b32_e32 v13, v7, v13, vcc
.LBB15_46:                              ;   in Loop: Header=BB15_4 Depth=1
	s_or_b64 exec, exec, s[16:17]
	v_mov_b32_e32 v7, v13
	v_mov_b32_e32 v11, v19
	v_mov_b32_e32 v10, v18
	v_mov_b32_e32 v9, v17
	v_mov_b32_e32 v8, v14
	v_mov_b32_e32 v12, v20
.LBB15_47:                              ;   in Loop: Header=BB15_4 Depth=1
	s_or_b64 exec, exec, s[14:15]
	ds_bpermute_b32 v13, v27, v7
	ds_bpermute_b32 v14, v27, v8
	;; [unrolled: 1-line block ×4, first 2 shown]
	s_waitcnt lgkmcnt(2)
	v_cmp_ne_u64_e32 vcc, 0, v[13:14]
	s_and_saveexec_b64 s[30:31], vcc
	s_cbranch_execz .LBB15_49
; %bb.48:                               ;   in Loop: Header=BB15_4 Depth=1
	s_waitcnt lgkmcnt(0)
	v_mov_b32_e32 v10, v6
	v_cmp_eq_f64_e32 vcc, v[11:12], v[9:10]
	v_cmp_gt_f64_e64 s[12:13], v[11:12], v[9:10]
	v_cmp_lt_i64_e64 s[14:15], v[13:14], v[7:8]
	v_cmp_eq_u64_e64 s[16:17], 0, v[7:8]
	s_and_b64 s[14:15], vcc, s[14:15]
	s_or_b64 vcc, s[16:17], s[12:13]
	s_or_b64 s[12:13], vcc, s[14:15]
	v_cndmask_b32_e32 v12, v12, v6, vcc
	v_cndmask_b32_e64 v8, v8, v14, s[12:13]
	v_cndmask_b32_e64 v7, v7, v13, s[12:13]
	v_cndmask_b32_e32 v11, v11, v9, vcc
.LBB15_49:                              ;   in Loop: Header=BB15_4 Depth=1
	s_or_b64 exec, exec, s[30:31]
	s_waitcnt lgkmcnt(1)
	v_mov_b32_e32 v9, v11
	v_mov_b32_e32 v10, v12
.LBB15_50:                              ;   in Loop: Header=BB15_4 Depth=1
	s_or_b64 exec, exec, s[28:29]
	s_waitcnt lgkmcnt(0)
	v_cmp_ne_u64_e32 vcc, 0, v[7:8]
	s_and_b64 s[12:13], s[26:27], vcc
	s_and_saveexec_b64 s[14:15], s[12:13]
	s_cbranch_execz .LBB15_3
; %bb.51:                               ;   in Loop: Header=BB15_4 Depth=1
	v_cmp_nlt_f64_e32 vcc, v[9:10], v[3:4]
	v_cmp_ne_u64_e64 s[12:13], 0, v[1:2]
	v_mov_b32_e32 v12, v10
	v_mov_b32_e32 v11, v9
	s_and_b64 s[12:13], s[12:13], vcc
	s_and_saveexec_b64 s[16:17], s[12:13]
	s_cbranch_execz .LBB15_2
; %bb.52:                               ;   in Loop: Header=BB15_4 Depth=1
	v_cmp_eq_f64_e64 s[12:13], v[3:4], v[9:10]
	v_cmp_lt_i64_e32 vcc, v[7:8], v[1:2]
	v_mov_b32_e32 v12, v4
	v_cndmask_b32_e32 v6, v2, v8, vcc
	v_mov_b32_e32 v11, v3
	s_and_b64 vcc, s[12:13], vcc
	v_cndmask_b32_e64 v8, v2, v6, s[12:13]
	v_cndmask_b32_e32 v7, v1, v7, vcc
	s_branch .LBB15_2
.LBB15_53:
	v_mov_b32_e32 v1, 0
	v_mov_b32_e32 v2, 0
.LBB15_54:
	s_mov_b32 s7, 0
	v_cmp_eq_u32_e32 vcc, 0, v0
	s_and_saveexec_b64 s[0:1], vcc
	s_cbranch_execz .LBB15_56
; %bb.55:
	s_load_dword s0, s[4:5], 0x30
	v_mov_b32_e32 v0, 0
	s_waitcnt lgkmcnt(0)
	s_mul_hi_u32 s1, s0, s10
	s_mul_i32 s0, s0, s10
	s_lshl_b64 s[0:1], s[0:1], 4
	s_add_u32 s2, s18, s0
	s_addc_u32 s3, s19, s1
	s_lshl_b64 s[0:1], s[6:7], 4
	s_add_u32 s0, s2, s0
	s_addc_u32 s1, s3, s1
	global_store_dwordx4 v0, v[1:4], s[0:1]
.LBB15_56:
	s_endpgm
	.section	.rodata,"a",@progbits
	.p2align	6, 0x0
	.amdhsa_kernel _ZL35rocblas_iamax_iamin_kernel_part1_64ILi1024E26rocblas_fetch_amax_amin_64IdE22rocblas_reduce_amin_64PK19rocblas_complex_numIdE24rocblas_index_64_value_tIdEEvlT2_lllPT3_
		.amdhsa_group_segment_fixed_size 1024
		.amdhsa_private_segment_fixed_size 0
		.amdhsa_kernarg_size 304
		.amdhsa_user_sgpr_count 6
		.amdhsa_user_sgpr_private_segment_buffer 1
		.amdhsa_user_sgpr_dispatch_ptr 0
		.amdhsa_user_sgpr_queue_ptr 0
		.amdhsa_user_sgpr_kernarg_segment_ptr 1
		.amdhsa_user_sgpr_dispatch_id 0
		.amdhsa_user_sgpr_flat_scratch_init 0
		.amdhsa_user_sgpr_private_segment_size 0
		.amdhsa_uses_dynamic_stack 0
		.amdhsa_system_sgpr_private_segment_wavefront_offset 0
		.amdhsa_system_sgpr_workgroup_id_x 1
		.amdhsa_system_sgpr_workgroup_id_y 0
		.amdhsa_system_sgpr_workgroup_id_z 1
		.amdhsa_system_sgpr_workgroup_info 0
		.amdhsa_system_vgpr_workitem_id 0
		.amdhsa_next_free_vgpr 30
		.amdhsa_next_free_sgpr 32
		.amdhsa_reserve_vcc 1
		.amdhsa_reserve_flat_scratch 0
		.amdhsa_float_round_mode_32 0
		.amdhsa_float_round_mode_16_64 0
		.amdhsa_float_denorm_mode_32 3
		.amdhsa_float_denorm_mode_16_64 3
		.amdhsa_dx10_clamp 1
		.amdhsa_ieee_mode 1
		.amdhsa_fp16_overflow 0
		.amdhsa_exception_fp_ieee_invalid_op 0
		.amdhsa_exception_fp_denorm_src 0
		.amdhsa_exception_fp_ieee_div_zero 0
		.amdhsa_exception_fp_ieee_overflow 0
		.amdhsa_exception_fp_ieee_underflow 0
		.amdhsa_exception_fp_ieee_inexact 0
		.amdhsa_exception_int_div_zero 0
	.end_amdhsa_kernel
	.section	.text._ZL35rocblas_iamax_iamin_kernel_part1_64ILi1024E26rocblas_fetch_amax_amin_64IdE22rocblas_reduce_amin_64PK19rocblas_complex_numIdE24rocblas_index_64_value_tIdEEvlT2_lllPT3_,"axG",@progbits,_ZL35rocblas_iamax_iamin_kernel_part1_64ILi1024E26rocblas_fetch_amax_amin_64IdE22rocblas_reduce_amin_64PK19rocblas_complex_numIdE24rocblas_index_64_value_tIdEEvlT2_lllPT3_,comdat
.Lfunc_end15:
	.size	_ZL35rocblas_iamax_iamin_kernel_part1_64ILi1024E26rocblas_fetch_amax_amin_64IdE22rocblas_reduce_amin_64PK19rocblas_complex_numIdE24rocblas_index_64_value_tIdEEvlT2_lllPT3_, .Lfunc_end15-_ZL35rocblas_iamax_iamin_kernel_part1_64ILi1024E26rocblas_fetch_amax_amin_64IdE22rocblas_reduce_amin_64PK19rocblas_complex_numIdE24rocblas_index_64_value_tIdEEvlT2_lllPT3_
                                        ; -- End function
	.set _ZL35rocblas_iamax_iamin_kernel_part1_64ILi1024E26rocblas_fetch_amax_amin_64IdE22rocblas_reduce_amin_64PK19rocblas_complex_numIdE24rocblas_index_64_value_tIdEEvlT2_lllPT3_.num_vgpr, 30
	.set _ZL35rocblas_iamax_iamin_kernel_part1_64ILi1024E26rocblas_fetch_amax_amin_64IdE22rocblas_reduce_amin_64PK19rocblas_complex_numIdE24rocblas_index_64_value_tIdEEvlT2_lllPT3_.num_agpr, 0
	.set _ZL35rocblas_iamax_iamin_kernel_part1_64ILi1024E26rocblas_fetch_amax_amin_64IdE22rocblas_reduce_amin_64PK19rocblas_complex_numIdE24rocblas_index_64_value_tIdEEvlT2_lllPT3_.numbered_sgpr, 32
	.set _ZL35rocblas_iamax_iamin_kernel_part1_64ILi1024E26rocblas_fetch_amax_amin_64IdE22rocblas_reduce_amin_64PK19rocblas_complex_numIdE24rocblas_index_64_value_tIdEEvlT2_lllPT3_.num_named_barrier, 0
	.set _ZL35rocblas_iamax_iamin_kernel_part1_64ILi1024E26rocblas_fetch_amax_amin_64IdE22rocblas_reduce_amin_64PK19rocblas_complex_numIdE24rocblas_index_64_value_tIdEEvlT2_lllPT3_.private_seg_size, 0
	.set _ZL35rocblas_iamax_iamin_kernel_part1_64ILi1024E26rocblas_fetch_amax_amin_64IdE22rocblas_reduce_amin_64PK19rocblas_complex_numIdE24rocblas_index_64_value_tIdEEvlT2_lllPT3_.uses_vcc, 1
	.set _ZL35rocblas_iamax_iamin_kernel_part1_64ILi1024E26rocblas_fetch_amax_amin_64IdE22rocblas_reduce_amin_64PK19rocblas_complex_numIdE24rocblas_index_64_value_tIdEEvlT2_lllPT3_.uses_flat_scratch, 0
	.set _ZL35rocblas_iamax_iamin_kernel_part1_64ILi1024E26rocblas_fetch_amax_amin_64IdE22rocblas_reduce_amin_64PK19rocblas_complex_numIdE24rocblas_index_64_value_tIdEEvlT2_lllPT3_.has_dyn_sized_stack, 0
	.set _ZL35rocblas_iamax_iamin_kernel_part1_64ILi1024E26rocblas_fetch_amax_amin_64IdE22rocblas_reduce_amin_64PK19rocblas_complex_numIdE24rocblas_index_64_value_tIdEEvlT2_lllPT3_.has_recursion, 0
	.set _ZL35rocblas_iamax_iamin_kernel_part1_64ILi1024E26rocblas_fetch_amax_amin_64IdE22rocblas_reduce_amin_64PK19rocblas_complex_numIdE24rocblas_index_64_value_tIdEEvlT2_lllPT3_.has_indirect_call, 0
	.section	.AMDGPU.csdata,"",@progbits
; Kernel info:
; codeLenInByte = 2444
; TotalNumSgprs: 36
; NumVgprs: 30
; ScratchSize: 0
; MemoryBound: 0
; FloatMode: 240
; IeeeMode: 1
; LDSByteSize: 1024 bytes/workgroup (compile time only)
; SGPRBlocks: 4
; VGPRBlocks: 7
; NumSGPRsForWavesPerEU: 36
; NumVGPRsForWavesPerEU: 30
; Occupancy: 8
; WaveLimiterHint : 0
; COMPUTE_PGM_RSRC2:SCRATCH_EN: 0
; COMPUTE_PGM_RSRC2:USER_SGPR: 6
; COMPUTE_PGM_RSRC2:TRAP_HANDLER: 0
; COMPUTE_PGM_RSRC2:TGID_X_EN: 1
; COMPUTE_PGM_RSRC2:TGID_Y_EN: 0
; COMPUTE_PGM_RSRC2:TGID_Z_EN: 1
; COMPUTE_PGM_RSRC2:TIDIG_COMP_CNT: 0
	.section	.text._ZL35rocblas_iamax_iamin_kernel_part1_64ILi1024E26rocblas_fetch_amax_amin_64IfE22rocblas_reduce_amin_64PKPKf24rocblas_index_64_value_tIfEEvlT2_lllPT3_,"axG",@progbits,_ZL35rocblas_iamax_iamin_kernel_part1_64ILi1024E26rocblas_fetch_amax_amin_64IfE22rocblas_reduce_amin_64PKPKf24rocblas_index_64_value_tIfEEvlT2_lllPT3_,comdat
	.globl	_ZL35rocblas_iamax_iamin_kernel_part1_64ILi1024E26rocblas_fetch_amax_amin_64IfE22rocblas_reduce_amin_64PKPKf24rocblas_index_64_value_tIfEEvlT2_lllPT3_ ; -- Begin function _ZL35rocblas_iamax_iamin_kernel_part1_64ILi1024E26rocblas_fetch_amax_amin_64IfE22rocblas_reduce_amin_64PKPKf24rocblas_index_64_value_tIfEEvlT2_lllPT3_
	.p2align	8
	.type	_ZL35rocblas_iamax_iamin_kernel_part1_64ILi1024E26rocblas_fetch_amax_amin_64IfE22rocblas_reduce_amin_64PKPKf24rocblas_index_64_value_tIfEEvlT2_lllPT3_,@function
_ZL35rocblas_iamax_iamin_kernel_part1_64ILi1024E26rocblas_fetch_amax_amin_64IfE22rocblas_reduce_amin_64PKPKf24rocblas_index_64_value_tIfEEvlT2_lllPT3_: ; @_ZL35rocblas_iamax_iamin_kernel_part1_64ILi1024E26rocblas_fetch_amax_amin_64IfE22rocblas_reduce_amin_64PKPKf24rocblas_index_64_value_tIfEEvlT2_lllPT3_
; %bb.0:
	s_load_dwordx8 s[16:23], s[4:5], 0x0
	s_mov_b32 s24, s7
	s_mov_b32 s25, 0
	s_waitcnt lgkmcnt(0)
	v_cmp_lt_i64_e64 s[0:1], s[16:17], 1
	s_and_b64 vcc, exec, s[0:1]
	s_cbranch_vccnz .LBB16_53
; %bb.1:
	v_mbcnt_lo_u32_b32 v2, -1, 0
	v_mbcnt_hi_u32_b32 v2, -1, v2
	v_and_b32_e32 v3, 63, v2
	v_mov_b32_e32 v4, 0x80
	v_cmp_gt_u32_e32 vcc, 48, v3
	v_lshl_or_b32 v13, v2, 2, v4
	v_cndmask_b32_e64 v4, 0, 16, vcc
	v_cmp_gt_u32_e32 vcc, 56, v3
	v_add_lshl_u32 v14, v4, v2, 2
	v_cndmask_b32_e64 v4, 0, 8, vcc
	v_cmp_gt_u32_e32 vcc, 60, v3
	v_add_lshl_u32 v15, v4, v2, 2
	;; [unrolled: 3-line block ×3, first 2 shown]
	v_cndmask_b32_e64 v4, 0, 2, vcc
	v_cmp_ne_u32_e32 vcc, 63, v3
	v_and_b32_e32 v1, 63, v0
	v_add_lshl_u32 v17, v4, v2, 2
	v_addc_co_u32_e32 v2, vcc, 0, v2, vcc
	v_lshl_or_b32 v19, s6, 10, v0
	s_lshl_b64 s[0:1], s[24:25], 3
	v_lshlrev_b32_e32 v12, 4, v1
	v_lshlrev_b32_e32 v18, 2, v2
	v_cmp_eq_u32_e64 s[2:3], 0, v1
	v_mad_u64_u32 v[1:2], s[8:9], s22, v19, 0
	s_add_u32 s0, s18, s0
	s_addc_u32 s1, s19, s1
	s_load_dword s7, s[4:5], 0x30
	s_load_dwordx2 s[10:11], s[0:1], 0x0
	v_lshrrev_b32_e32 v3, 2, v0
	v_and_b32_e32 v20, 0xf0, v3
	v_mad_u64_u32 v[2:3], s[12:13], s23, v19, v[2:3]
	s_waitcnt lgkmcnt(0)
	s_lshl_b32 s7, s7, 10
	s_lshl_b64 s[12:13], s[20:21], 2
	v_lshlrev_b64 v[1:2], 2, v[1:2]
	s_add_u32 s10, s10, s12
	s_addc_u32 s11, s11, s13
	v_mov_b32_e32 v3, s11
	v_add_co_u32_e64 v6, s[10:11], s10, v1
	v_addc_co_u32_e64 v7, s[10:11], v3, v2, s[10:11]
	s_mul_i32 s10, s23, s7
	s_mul_hi_u32 s11, s22, s7
	v_cmp_ne_u32_e32 vcc, 0, v0
	s_add_i32 s11, s11, s10
	s_mul_i32 s10, s22, s7
	v_mov_b32_e32 v1, 0
	v_cmp_gt_u32_e64 s[0:1], 64, v0
	v_cmp_gt_u32_e64 s[8:9], 16, v0
	v_mov_b32_e32 v4, 0
	s_lshl_b64 s[18:19], s[10:11], 2
	s_mov_b64 s[20:21], 0
	v_mov_b32_e32 v2, 0
	s_xor_b64 s[22:23], vcc, -1
                                        ; implicit-def: $vgpr21
	s_branch .LBB16_4
.LBB16_2:                               ;   in Loop: Header=BB16_4 Depth=1
	s_or_b64 exec, exec, s[14:15]
	v_mov_b32_e32 v1, v8
	v_mov_b32_e32 v2, v9
	;; [unrolled: 1-line block ×3, first 2 shown]
.LBB16_3:                               ;   in Loop: Header=BB16_4 Depth=1
	s_or_b64 exec, exec, s[12:13]
	s_add_u32 s20, s20, s7
	v_mov_b32_e32 v8, s16
	s_addc_u32 s21, s21, 0
	v_mov_b32_e32 v9, s17
	v_cmp_ge_i64_e32 vcc, s[20:21], v[8:9]
	v_mov_b32_e32 v5, s19
	v_add_co_u32_e64 v6, s[10:11], s18, v6
	v_addc_co_u32_e64 v7, s[10:11], v7, v5, s[10:11]
	s_cbranch_vccnz .LBB16_54
.LBB16_4:                               ; =>This Inner Loop Header: Depth=1
	v_mov_b32_e32 v5, s21
	v_add_co_u32_e32 v10, vcc, s20, v19
	v_addc_co_u32_e32 v11, vcc, 0, v5, vcc
	v_cmp_gt_i64_e32 vcc, s[16:17], v[10:11]
	v_mov_b32_e32 v8, 0
	v_mov_b32_e32 v9, 0
	s_and_saveexec_b64 s[10:11], vcc
	s_cbranch_execz .LBB16_6
; %bb.5:                                ;   in Loop: Header=BB16_4 Depth=1
	flat_load_dword v5, v[6:7]
	v_add_co_u32_e32 v8, vcc, 1, v10
	v_addc_co_u32_e32 v9, vcc, 0, v11, vcc
	s_waitcnt vmcnt(0) lgkmcnt(0)
	v_cmp_gt_f32_e32 vcc, 0, v5
	v_cndmask_b32_e64 v21, v5, -v5, vcc
.LBB16_6:                               ;   in Loop: Header=BB16_4 Depth=1
	s_or_b64 exec, exec, s[10:11]
	s_and_saveexec_b64 s[10:11], s[0:1]
	s_cbranch_execz .LBB16_8
; %bb.7:                                ;   in Loop: Header=BB16_4 Depth=1
	v_mov_b32_e32 v5, v4
	ds_write_b64 v12, v[4:5]
	ds_write_b32 v12, v4 offset:8
.LBB16_8:                               ;   in Loop: Header=BB16_4 Depth=1
	s_or_b64 exec, exec, s[10:11]
	ds_bpermute_b32 v10, v13, v8
	ds_bpermute_b32 v11, v13, v9
	s_waitcnt lgkmcnt(2)
	ds_bpermute_b32 v22, v13, v21
	v_mov_b32_e32 v5, v21
	s_waitcnt lgkmcnt(0)
	s_barrier
	v_cmp_ne_u64_e32 vcc, 0, v[10:11]
	s_and_saveexec_b64 s[12:13], vcc
	s_cbranch_execz .LBB16_12
; %bb.9:                                ;   in Loop: Header=BB16_4 Depth=1
	v_cmp_ne_u64_e32 vcc, 0, v[8:9]
	v_cmp_ngt_f32_e64 s[10:11], v21, v22
	s_and_b64 s[10:11], vcc, s[10:11]
	s_and_saveexec_b64 s[14:15], s[10:11]
; %bb.10:                               ;   in Loop: Header=BB16_4 Depth=1
	v_cmp_lt_i64_e32 vcc, v[10:11], v[8:9]
	v_cmp_eq_f32_e64 s[10:11], v21, v22
	v_cndmask_b32_e32 v5, v9, v11, vcc
	s_and_b64 vcc, s[10:11], vcc
	v_cndmask_b32_e64 v11, v9, v5, s[10:11]
	v_cndmask_b32_e32 v10, v8, v10, vcc
	v_mov_b32_e32 v22, v21
; %bb.11:                               ;   in Loop: Header=BB16_4 Depth=1
	s_or_b64 exec, exec, s[14:15]
	v_mov_b32_e32 v8, v10
	v_mov_b32_e32 v21, v22
	;; [unrolled: 1-line block ×4, first 2 shown]
.LBB16_12:                              ;   in Loop: Header=BB16_4 Depth=1
	s_or_b64 exec, exec, s[12:13]
	ds_bpermute_b32 v10, v14, v8
	ds_bpermute_b32 v11, v14, v9
	;; [unrolled: 1-line block ×3, first 2 shown]
	s_waitcnt lgkmcnt(1)
	v_cmp_ne_u64_e32 vcc, 0, v[10:11]
	s_and_saveexec_b64 s[12:13], vcc
	s_cbranch_execz .LBB16_16
; %bb.13:                               ;   in Loop: Header=BB16_4 Depth=1
	v_cmp_ne_u64_e32 vcc, 0, v[8:9]
	s_waitcnt lgkmcnt(0)
	v_cmp_ngt_f32_e64 s[10:11], v5, v22
	s_and_b64 s[10:11], vcc, s[10:11]
	v_mov_b32_e32 v23, v22
	s_and_saveexec_b64 s[14:15], s[10:11]
; %bb.14:                               ;   in Loop: Header=BB16_4 Depth=1
	v_cmp_lt_i64_e32 vcc, v[10:11], v[8:9]
	v_cmp_eq_f32_e64 s[10:11], v5, v22
	v_cndmask_b32_e32 v11, v9, v11, vcc
	s_and_b64 vcc, s[10:11], vcc
	v_cndmask_b32_e64 v11, v9, v11, s[10:11]
	v_cndmask_b32_e32 v10, v8, v10, vcc
	v_mov_b32_e32 v23, v5
	v_mov_b32_e32 v22, v21
; %bb.15:                               ;   in Loop: Header=BB16_4 Depth=1
	s_or_b64 exec, exec, s[14:15]
	v_mov_b32_e32 v8, v10
	v_mov_b32_e32 v21, v22
	v_mov_b32_e32 v9, v11
	v_mov_b32_e32 v5, v23
.LBB16_16:                              ;   in Loop: Header=BB16_4 Depth=1
	s_or_b64 exec, exec, s[12:13]
	ds_bpermute_b32 v10, v15, v8
	ds_bpermute_b32 v11, v15, v9
	s_waitcnt lgkmcnt(2)
	ds_bpermute_b32 v22, v15, v21
	s_waitcnt lgkmcnt(1)
	v_cmp_ne_u64_e32 vcc, 0, v[10:11]
	s_and_saveexec_b64 s[12:13], vcc
	s_cbranch_execz .LBB16_20
; %bb.17:                               ;   in Loop: Header=BB16_4 Depth=1
	v_cmp_ne_u64_e32 vcc, 0, v[8:9]
	s_waitcnt lgkmcnt(0)
	v_cmp_ngt_f32_e64 s[10:11], v5, v22
	s_and_b64 s[10:11], vcc, s[10:11]
	v_mov_b32_e32 v23, v22
	s_and_saveexec_b64 s[14:15], s[10:11]
; %bb.18:                               ;   in Loop: Header=BB16_4 Depth=1
	v_cmp_lt_i64_e32 vcc, v[10:11], v[8:9]
	v_cmp_eq_f32_e64 s[10:11], v5, v22
	v_cndmask_b32_e32 v11, v9, v11, vcc
	s_and_b64 vcc, s[10:11], vcc
	v_cndmask_b32_e64 v11, v9, v11, s[10:11]
	v_cndmask_b32_e32 v10, v8, v10, vcc
	v_mov_b32_e32 v23, v5
	v_mov_b32_e32 v22, v21
; %bb.19:                               ;   in Loop: Header=BB16_4 Depth=1
	s_or_b64 exec, exec, s[14:15]
	v_mov_b32_e32 v8, v10
	v_mov_b32_e32 v21, v22
	v_mov_b32_e32 v9, v11
	v_mov_b32_e32 v5, v23
.LBB16_20:                              ;   in Loop: Header=BB16_4 Depth=1
	s_or_b64 exec, exec, s[12:13]
	ds_bpermute_b32 v10, v16, v8
	ds_bpermute_b32 v11, v16, v9
	s_waitcnt lgkmcnt(2)
	ds_bpermute_b32 v22, v16, v21
	;; [unrolled: 32-line block ×3, first 2 shown]
	s_waitcnt lgkmcnt(1)
	v_cmp_ne_u64_e32 vcc, 0, v[10:11]
	s_and_saveexec_b64 s[12:13], vcc
	s_cbranch_execz .LBB16_28
; %bb.25:                               ;   in Loop: Header=BB16_4 Depth=1
	v_cmp_ne_u64_e32 vcc, 0, v[8:9]
	s_waitcnt lgkmcnt(0)
	v_cmp_ngt_f32_e64 s[10:11], v5, v22
	s_and_b64 s[10:11], vcc, s[10:11]
	v_mov_b32_e32 v23, v22
	s_and_saveexec_b64 s[14:15], s[10:11]
; %bb.26:                               ;   in Loop: Header=BB16_4 Depth=1
	v_cmp_lt_i64_e32 vcc, v[10:11], v[8:9]
	v_cmp_eq_f32_e64 s[10:11], v5, v22
	v_cndmask_b32_e32 v11, v9, v11, vcc
	s_and_b64 vcc, s[10:11], vcc
	v_cndmask_b32_e64 v11, v9, v11, s[10:11]
	v_cndmask_b32_e32 v10, v8, v10, vcc
	v_mov_b32_e32 v23, v5
	v_mov_b32_e32 v22, v21
; %bb.27:                               ;   in Loop: Header=BB16_4 Depth=1
	s_or_b64 exec, exec, s[14:15]
	v_mov_b32_e32 v8, v10
	v_mov_b32_e32 v21, v22
	;; [unrolled: 1-line block ×4, first 2 shown]
.LBB16_28:                              ;   in Loop: Header=BB16_4 Depth=1
	s_or_b64 exec, exec, s[12:13]
	ds_bpermute_b32 v10, v18, v8
	ds_bpermute_b32 v11, v18, v9
	;; [unrolled: 1-line block ×3, first 2 shown]
	s_waitcnt lgkmcnt(1)
	v_cmp_ne_u64_e32 vcc, 0, v[10:11]
	s_and_saveexec_b64 s[26:27], vcc
	s_cbranch_execz .LBB16_30
; %bb.29:                               ;   in Loop: Header=BB16_4 Depth=1
	v_cmp_eq_u64_e32 vcc, 0, v[8:9]
	v_cmp_lt_i64_e64 s[12:13], v[10:11], v[8:9]
	s_waitcnt lgkmcnt(0)
	v_cmp_gt_f32_e64 s[10:11], v5, v21
	v_cmp_eq_f32_e64 s[14:15], v5, v21
	s_and_b64 s[12:13], s[14:15], s[12:13]
	s_or_b64 vcc, vcc, s[10:11]
	v_cndmask_b32_e64 v9, v9, v11, s[12:13]
	s_or_b64 s[10:11], vcc, s[12:13]
	v_cndmask_b32_e32 v9, v9, v11, vcc
	v_cndmask_b32_e64 v8, v8, v10, s[10:11]
	v_cndmask_b32_e32 v5, v5, v21, vcc
.LBB16_30:                              ;   in Loop: Header=BB16_4 Depth=1
	s_or_b64 exec, exec, s[26:27]
	s_and_saveexec_b64 s[10:11], s[2:3]
	s_cbranch_execz .LBB16_32
; %bb.31:                               ;   in Loop: Header=BB16_4 Depth=1
	ds_write_b64 v20, v[8:9]
	ds_write_b32 v20, v5 offset:8
.LBB16_32:                              ;   in Loop: Header=BB16_4 Depth=1
	s_or_b64 exec, exec, s[10:11]
	v_mov_b32_e32 v8, 0
	v_mov_b32_e32 v9, 0
	s_waitcnt lgkmcnt(0)
	v_mov_b32_e32 v21, 0
	s_barrier
	s_and_saveexec_b64 s[10:11], s[8:9]
	s_cbranch_execz .LBB16_34
; %bb.33:                               ;   in Loop: Header=BB16_4 Depth=1
	ds_read_b64 v[8:9], v12
	ds_read_b32 v21, v12 offset:8
.LBB16_34:                              ;   in Loop: Header=BB16_4 Depth=1
	s_or_b64 exec, exec, s[10:11]
	s_and_saveexec_b64 s[26:27], s[0:1]
	s_cbranch_execz .LBB16_50
; %bb.35:                               ;   in Loop: Header=BB16_4 Depth=1
	s_waitcnt lgkmcnt(1)
	ds_bpermute_b32 v10, v15, v8
	ds_bpermute_b32 v11, v15, v9
	s_waitcnt lgkmcnt(2)
	ds_bpermute_b32 v22, v15, v21
	v_mov_b32_e32 v5, v21
	s_waitcnt lgkmcnt(1)
	v_cmp_ne_u64_e32 vcc, 0, v[10:11]
	s_and_saveexec_b64 s[12:13], vcc
	s_cbranch_execz .LBB16_39
; %bb.36:                               ;   in Loop: Header=BB16_4 Depth=1
	v_cmp_ne_u64_e32 vcc, 0, v[8:9]
	s_waitcnt lgkmcnt(0)
	v_cmp_ngt_f32_e64 s[10:11], v21, v22
	s_and_b64 s[10:11], vcc, s[10:11]
	s_and_saveexec_b64 s[14:15], s[10:11]
; %bb.37:                               ;   in Loop: Header=BB16_4 Depth=1
	v_cmp_lt_i64_e32 vcc, v[10:11], v[8:9]
	v_cmp_eq_f32_e64 s[10:11], v21, v22
	v_cndmask_b32_e32 v5, v9, v11, vcc
	s_and_b64 vcc, s[10:11], vcc
	v_cndmask_b32_e64 v11, v9, v5, s[10:11]
	v_cndmask_b32_e32 v10, v8, v10, vcc
	v_mov_b32_e32 v22, v21
; %bb.38:                               ;   in Loop: Header=BB16_4 Depth=1
	s_or_b64 exec, exec, s[14:15]
	v_mov_b32_e32 v8, v10
	v_mov_b32_e32 v21, v22
	;; [unrolled: 1-line block ×4, first 2 shown]
.LBB16_39:                              ;   in Loop: Header=BB16_4 Depth=1
	s_or_b64 exec, exec, s[12:13]
	ds_bpermute_b32 v10, v16, v8
	ds_bpermute_b32 v11, v16, v9
	s_waitcnt lgkmcnt(2)
	ds_bpermute_b32 v22, v16, v21
	s_waitcnt lgkmcnt(1)
	v_cmp_ne_u64_e32 vcc, 0, v[10:11]
	s_and_saveexec_b64 s[12:13], vcc
	s_cbranch_execz .LBB16_43
; %bb.40:                               ;   in Loop: Header=BB16_4 Depth=1
	v_cmp_ne_u64_e32 vcc, 0, v[8:9]
	s_waitcnt lgkmcnt(0)
	v_cmp_ngt_f32_e64 s[10:11], v5, v22
	s_and_b64 s[10:11], vcc, s[10:11]
	v_mov_b32_e32 v23, v22
	s_and_saveexec_b64 s[14:15], s[10:11]
; %bb.41:                               ;   in Loop: Header=BB16_4 Depth=1
	v_cmp_lt_i64_e32 vcc, v[10:11], v[8:9]
	v_cmp_eq_f32_e64 s[10:11], v5, v22
	v_cndmask_b32_e32 v11, v9, v11, vcc
	s_and_b64 vcc, s[10:11], vcc
	v_cndmask_b32_e64 v11, v9, v11, s[10:11]
	v_cndmask_b32_e32 v10, v8, v10, vcc
	v_mov_b32_e32 v23, v5
	v_mov_b32_e32 v22, v21
; %bb.42:                               ;   in Loop: Header=BB16_4 Depth=1
	s_or_b64 exec, exec, s[14:15]
	v_mov_b32_e32 v8, v10
	v_mov_b32_e32 v21, v22
	;; [unrolled: 1-line block ×4, first 2 shown]
.LBB16_43:                              ;   in Loop: Header=BB16_4 Depth=1
	s_or_b64 exec, exec, s[12:13]
	ds_bpermute_b32 v10, v17, v8
	ds_bpermute_b32 v11, v17, v9
	s_waitcnt lgkmcnt(2)
	ds_bpermute_b32 v22, v17, v21
	s_waitcnt lgkmcnt(1)
	v_cmp_ne_u64_e32 vcc, 0, v[10:11]
	s_and_saveexec_b64 s[12:13], vcc
	s_cbranch_execz .LBB16_47
; %bb.44:                               ;   in Loop: Header=BB16_4 Depth=1
	v_cmp_ne_u64_e32 vcc, 0, v[8:9]
	s_waitcnt lgkmcnt(0)
	v_cmp_ngt_f32_e64 s[10:11], v5, v22
	s_and_b64 s[10:11], vcc, s[10:11]
	v_mov_b32_e32 v23, v22
	s_and_saveexec_b64 s[14:15], s[10:11]
; %bb.45:                               ;   in Loop: Header=BB16_4 Depth=1
	v_cmp_lt_i64_e32 vcc, v[10:11], v[8:9]
	v_cmp_eq_f32_e64 s[10:11], v5, v22
	v_cndmask_b32_e32 v11, v9, v11, vcc
	s_and_b64 vcc, s[10:11], vcc
	v_cndmask_b32_e64 v11, v9, v11, s[10:11]
	v_cndmask_b32_e32 v10, v8, v10, vcc
	v_mov_b32_e32 v23, v5
	v_mov_b32_e32 v22, v21
; %bb.46:                               ;   in Loop: Header=BB16_4 Depth=1
	s_or_b64 exec, exec, s[14:15]
	v_mov_b32_e32 v8, v10
	v_mov_b32_e32 v21, v22
	v_mov_b32_e32 v9, v11
	v_mov_b32_e32 v5, v23
.LBB16_47:                              ;   in Loop: Header=BB16_4 Depth=1
	s_or_b64 exec, exec, s[12:13]
	ds_bpermute_b32 v10, v18, v8
	ds_bpermute_b32 v11, v18, v9
	;; [unrolled: 1-line block ×3, first 2 shown]
	s_waitcnt lgkmcnt(1)
	v_cmp_ne_u64_e32 vcc, 0, v[10:11]
	s_and_saveexec_b64 s[28:29], vcc
	s_cbranch_execz .LBB16_49
; %bb.48:                               ;   in Loop: Header=BB16_4 Depth=1
	v_cmp_eq_u64_e32 vcc, 0, v[8:9]
	v_cmp_lt_i64_e64 s[12:13], v[10:11], v[8:9]
	s_waitcnt lgkmcnt(0)
	v_cmp_gt_f32_e64 s[10:11], v5, v21
	v_cmp_eq_f32_e64 s[14:15], v5, v21
	s_and_b64 s[12:13], s[14:15], s[12:13]
	s_or_b64 vcc, vcc, s[10:11]
	v_cndmask_b32_e64 v9, v9, v11, s[12:13]
	s_or_b64 s[10:11], vcc, s[12:13]
	v_cndmask_b32_e32 v9, v9, v11, vcc
	v_cndmask_b32_e64 v8, v8, v10, s[10:11]
	v_cndmask_b32_e32 v5, v5, v21, vcc
.LBB16_49:                              ;   in Loop: Header=BB16_4 Depth=1
	s_or_b64 exec, exec, s[28:29]
	s_waitcnt lgkmcnt(0)
	v_mov_b32_e32 v21, v5
.LBB16_50:                              ;   in Loop: Header=BB16_4 Depth=1
	s_or_b64 exec, exec, s[26:27]
	s_waitcnt lgkmcnt(1)
	v_cmp_ne_u64_e32 vcc, 0, v[8:9]
	s_and_b64 s[10:11], s[22:23], vcc
	s_and_saveexec_b64 s[12:13], s[10:11]
	s_cbranch_execz .LBB16_3
; %bb.51:                               ;   in Loop: Header=BB16_4 Depth=1
	v_cmp_ne_u64_e32 vcc, 0, v[1:2]
	s_waitcnt lgkmcnt(0)
	v_cmp_nlt_f32_e64 s[10:11], v21, v3
	s_and_b64 s[10:11], vcc, s[10:11]
	v_mov_b32_e32 v5, v21
	s_and_saveexec_b64 s[14:15], s[10:11]
	s_cbranch_execz .LBB16_2
; %bb.52:                               ;   in Loop: Header=BB16_4 Depth=1
	v_cmp_lt_i64_e32 vcc, v[8:9], v[1:2]
	v_cmp_eq_f32_e64 s[10:11], v3, v21
	v_cndmask_b32_e32 v5, v2, v9, vcc
	s_and_b64 vcc, s[10:11], vcc
	v_cndmask_b32_e64 v9, v2, v5, s[10:11]
	v_cndmask_b32_e32 v8, v1, v8, vcc
	v_mov_b32_e32 v5, v3
	s_branch .LBB16_2
.LBB16_53:
	v_mov_b32_e32 v1, 0
	v_mov_b32_e32 v2, 0
.LBB16_54:
	s_mov_b32 s7, 0
	v_cmp_eq_u32_e32 vcc, 0, v0
	s_and_saveexec_b64 s[0:1], vcc
	s_cbranch_execz .LBB16_56
; %bb.55:
	s_load_dword s2, s[4:5], 0x30
	s_load_dwordx2 s[0:1], s[4:5], 0x28
	v_mov_b32_e32 v0, 0
	s_waitcnt lgkmcnt(0)
	s_mul_hi_u32 s3, s2, s24
	s_mul_i32 s2, s2, s24
	s_lshl_b64 s[2:3], s[2:3], 4
	s_add_u32 s2, s0, s2
	s_addc_u32 s3, s1, s3
	s_lshl_b64 s[0:1], s[6:7], 4
	s_add_u32 s0, s2, s0
	s_addc_u32 s1, s3, s1
	global_store_dwordx3 v0, v[1:3], s[0:1]
.LBB16_56:
	s_endpgm
	.section	.rodata,"a",@progbits
	.p2align	6, 0x0
	.amdhsa_kernel _ZL35rocblas_iamax_iamin_kernel_part1_64ILi1024E26rocblas_fetch_amax_amin_64IfE22rocblas_reduce_amin_64PKPKf24rocblas_index_64_value_tIfEEvlT2_lllPT3_
		.amdhsa_group_segment_fixed_size 1024
		.amdhsa_private_segment_fixed_size 0
		.amdhsa_kernarg_size 304
		.amdhsa_user_sgpr_count 6
		.amdhsa_user_sgpr_private_segment_buffer 1
		.amdhsa_user_sgpr_dispatch_ptr 0
		.amdhsa_user_sgpr_queue_ptr 0
		.amdhsa_user_sgpr_kernarg_segment_ptr 1
		.amdhsa_user_sgpr_dispatch_id 0
		.amdhsa_user_sgpr_flat_scratch_init 0
		.amdhsa_user_sgpr_private_segment_size 0
		.amdhsa_uses_dynamic_stack 0
		.amdhsa_system_sgpr_private_segment_wavefront_offset 0
		.amdhsa_system_sgpr_workgroup_id_x 1
		.amdhsa_system_sgpr_workgroup_id_y 0
		.amdhsa_system_sgpr_workgroup_id_z 1
		.amdhsa_system_sgpr_workgroup_info 0
		.amdhsa_system_vgpr_workitem_id 0
		.amdhsa_next_free_vgpr 24
		.amdhsa_next_free_sgpr 30
		.amdhsa_reserve_vcc 1
		.amdhsa_reserve_flat_scratch 0
		.amdhsa_float_round_mode_32 0
		.amdhsa_float_round_mode_16_64 0
		.amdhsa_float_denorm_mode_32 3
		.amdhsa_float_denorm_mode_16_64 3
		.amdhsa_dx10_clamp 1
		.amdhsa_ieee_mode 1
		.amdhsa_fp16_overflow 0
		.amdhsa_exception_fp_ieee_invalid_op 0
		.amdhsa_exception_fp_denorm_src 0
		.amdhsa_exception_fp_ieee_div_zero 0
		.amdhsa_exception_fp_ieee_overflow 0
		.amdhsa_exception_fp_ieee_underflow 0
		.amdhsa_exception_fp_ieee_inexact 0
		.amdhsa_exception_int_div_zero 0
	.end_amdhsa_kernel
	.section	.text._ZL35rocblas_iamax_iamin_kernel_part1_64ILi1024E26rocblas_fetch_amax_amin_64IfE22rocblas_reduce_amin_64PKPKf24rocblas_index_64_value_tIfEEvlT2_lllPT3_,"axG",@progbits,_ZL35rocblas_iamax_iamin_kernel_part1_64ILi1024E26rocblas_fetch_amax_amin_64IfE22rocblas_reduce_amin_64PKPKf24rocblas_index_64_value_tIfEEvlT2_lllPT3_,comdat
.Lfunc_end16:
	.size	_ZL35rocblas_iamax_iamin_kernel_part1_64ILi1024E26rocblas_fetch_amax_amin_64IfE22rocblas_reduce_amin_64PKPKf24rocblas_index_64_value_tIfEEvlT2_lllPT3_, .Lfunc_end16-_ZL35rocblas_iamax_iamin_kernel_part1_64ILi1024E26rocblas_fetch_amax_amin_64IfE22rocblas_reduce_amin_64PKPKf24rocblas_index_64_value_tIfEEvlT2_lllPT3_
                                        ; -- End function
	.set _ZL35rocblas_iamax_iamin_kernel_part1_64ILi1024E26rocblas_fetch_amax_amin_64IfE22rocblas_reduce_amin_64PKPKf24rocblas_index_64_value_tIfEEvlT2_lllPT3_.num_vgpr, 24
	.set _ZL35rocblas_iamax_iamin_kernel_part1_64ILi1024E26rocblas_fetch_amax_amin_64IfE22rocblas_reduce_amin_64PKPKf24rocblas_index_64_value_tIfEEvlT2_lllPT3_.num_agpr, 0
	.set _ZL35rocblas_iamax_iamin_kernel_part1_64ILi1024E26rocblas_fetch_amax_amin_64IfE22rocblas_reduce_amin_64PKPKf24rocblas_index_64_value_tIfEEvlT2_lllPT3_.numbered_sgpr, 30
	.set _ZL35rocblas_iamax_iamin_kernel_part1_64ILi1024E26rocblas_fetch_amax_amin_64IfE22rocblas_reduce_amin_64PKPKf24rocblas_index_64_value_tIfEEvlT2_lllPT3_.num_named_barrier, 0
	.set _ZL35rocblas_iamax_iamin_kernel_part1_64ILi1024E26rocblas_fetch_amax_amin_64IfE22rocblas_reduce_amin_64PKPKf24rocblas_index_64_value_tIfEEvlT2_lllPT3_.private_seg_size, 0
	.set _ZL35rocblas_iamax_iamin_kernel_part1_64ILi1024E26rocblas_fetch_amax_amin_64IfE22rocblas_reduce_amin_64PKPKf24rocblas_index_64_value_tIfEEvlT2_lllPT3_.uses_vcc, 1
	.set _ZL35rocblas_iamax_iamin_kernel_part1_64ILi1024E26rocblas_fetch_amax_amin_64IfE22rocblas_reduce_amin_64PKPKf24rocblas_index_64_value_tIfEEvlT2_lllPT3_.uses_flat_scratch, 0
	.set _ZL35rocblas_iamax_iamin_kernel_part1_64ILi1024E26rocblas_fetch_amax_amin_64IfE22rocblas_reduce_amin_64PKPKf24rocblas_index_64_value_tIfEEvlT2_lllPT3_.has_dyn_sized_stack, 0
	.set _ZL35rocblas_iamax_iamin_kernel_part1_64ILi1024E26rocblas_fetch_amax_amin_64IfE22rocblas_reduce_amin_64PKPKf24rocblas_index_64_value_tIfEEvlT2_lllPT3_.has_recursion, 0
	.set _ZL35rocblas_iamax_iamin_kernel_part1_64ILi1024E26rocblas_fetch_amax_amin_64IfE22rocblas_reduce_amin_64PKPKf24rocblas_index_64_value_tIfEEvlT2_lllPT3_.has_indirect_call, 0
	.section	.AMDGPU.csdata,"",@progbits
; Kernel info:
; codeLenInByte = 2104
; TotalNumSgprs: 34
; NumVgprs: 24
; ScratchSize: 0
; MemoryBound: 0
; FloatMode: 240
; IeeeMode: 1
; LDSByteSize: 1024 bytes/workgroup (compile time only)
; SGPRBlocks: 4
; VGPRBlocks: 5
; NumSGPRsForWavesPerEU: 34
; NumVGPRsForWavesPerEU: 24
; Occupancy: 10
; WaveLimiterHint : 0
; COMPUTE_PGM_RSRC2:SCRATCH_EN: 0
; COMPUTE_PGM_RSRC2:USER_SGPR: 6
; COMPUTE_PGM_RSRC2:TRAP_HANDLER: 0
; COMPUTE_PGM_RSRC2:TGID_X_EN: 1
; COMPUTE_PGM_RSRC2:TGID_Y_EN: 0
; COMPUTE_PGM_RSRC2:TGID_Z_EN: 1
; COMPUTE_PGM_RSRC2:TIDIG_COMP_CNT: 0
	.section	.text._ZL35rocblas_iamax_iamin_kernel_part1_64ILi1024E26rocblas_fetch_amax_amin_64IdE22rocblas_reduce_amin_64PKPKd24rocblas_index_64_value_tIdEEvlT2_lllPT3_,"axG",@progbits,_ZL35rocblas_iamax_iamin_kernel_part1_64ILi1024E26rocblas_fetch_amax_amin_64IdE22rocblas_reduce_amin_64PKPKd24rocblas_index_64_value_tIdEEvlT2_lllPT3_,comdat
	.globl	_ZL35rocblas_iamax_iamin_kernel_part1_64ILi1024E26rocblas_fetch_amax_amin_64IdE22rocblas_reduce_amin_64PKPKd24rocblas_index_64_value_tIdEEvlT2_lllPT3_ ; -- Begin function _ZL35rocblas_iamax_iamin_kernel_part1_64ILi1024E26rocblas_fetch_amax_amin_64IdE22rocblas_reduce_amin_64PKPKd24rocblas_index_64_value_tIdEEvlT2_lllPT3_
	.p2align	8
	.type	_ZL35rocblas_iamax_iamin_kernel_part1_64ILi1024E26rocblas_fetch_amax_amin_64IdE22rocblas_reduce_amin_64PKPKd24rocblas_index_64_value_tIdEEvlT2_lllPT3_,@function
_ZL35rocblas_iamax_iamin_kernel_part1_64ILi1024E26rocblas_fetch_amax_amin_64IdE22rocblas_reduce_amin_64PKPKd24rocblas_index_64_value_tIdEEvlT2_lllPT3_: ; @_ZL35rocblas_iamax_iamin_kernel_part1_64ILi1024E26rocblas_fetch_amax_amin_64IdE22rocblas_reduce_amin_64PKPKd24rocblas_index_64_value_tIdEEvlT2_lllPT3_
; %bb.0:
	s_load_dwordx8 s[16:23], s[4:5], 0x0
	s_mov_b32 s24, s7
	s_mov_b32 s25, 0
	s_waitcnt lgkmcnt(0)
	v_cmp_lt_i64_e64 s[0:1], s[16:17], 1
	s_and_b64 vcc, exec, s[0:1]
	s_cbranch_vccnz .LBB17_53
; %bb.1:
	v_mbcnt_lo_u32_b32 v2, -1, 0
	v_mbcnt_hi_u32_b32 v2, -1, v2
	v_and_b32_e32 v3, 63, v2
	v_mov_b32_e32 v4, 0x80
	v_cmp_gt_u32_e32 vcc, 48, v3
	v_lshl_or_b32 v22, v2, 2, v4
	v_cndmask_b32_e64 v4, 0, 16, vcc
	v_cmp_gt_u32_e32 vcc, 56, v3
	v_add_lshl_u32 v23, v4, v2, 2
	v_cndmask_b32_e64 v4, 0, 8, vcc
	v_cmp_gt_u32_e32 vcc, 60, v3
	v_add_lshl_u32 v24, v4, v2, 2
	;; [unrolled: 3-line block ×3, first 2 shown]
	v_cndmask_b32_e64 v4, 0, 2, vcc
	v_cmp_ne_u32_e32 vcc, 63, v3
	v_and_b32_e32 v1, 63, v0
	v_add_lshl_u32 v26, v4, v2, 2
	v_addc_co_u32_e32 v2, vcc, 0, v2, vcc
	v_lshl_or_b32 v28, s6, 10, v0
	s_lshl_b64 s[0:1], s[24:25], 3
	v_lshlrev_b32_e32 v21, 4, v1
	v_lshlrev_b32_e32 v27, 2, v2
	v_cmp_eq_u32_e64 s[2:3], 0, v1
	v_mad_u64_u32 v[1:2], s[8:9], s22, v28, 0
	s_add_u32 s0, s18, s0
	s_addc_u32 s1, s19, s1
	s_load_dword s7, s[4:5], 0x30
	s_load_dwordx2 s[10:11], s[0:1], 0x0
	v_lshrrev_b32_e32 v3, 2, v0
	v_and_b32_e32 v29, 0xf0, v3
	v_mad_u64_u32 v[2:3], s[12:13], s23, v28, v[2:3]
	s_waitcnt lgkmcnt(0)
	s_lshl_b32 s7, s7, 10
	s_lshl_b64 s[12:13], s[20:21], 3
	v_lshlrev_b64 v[1:2], 3, v[1:2]
	s_add_u32 s10, s10, s12
	s_addc_u32 s11, s11, s13
	v_mov_b32_e32 v3, s11
	v_add_co_u32_e64 v15, s[10:11], s10, v1
	v_addc_co_u32_e64 v16, s[10:11], v3, v2, s[10:11]
	s_mul_i32 s10, s23, s7
	s_mul_hi_u32 s11, s22, s7
	v_cmp_ne_u32_e32 vcc, 0, v0
	s_add_i32 s11, s11, s10
	s_mul_i32 s10, s22, s7
	v_mov_b32_e32 v1, 0
	v_cmp_gt_u32_e64 s[0:1], 64, v0
	v_cmp_gt_u32_e64 s[8:9], 16, v0
	v_mov_b32_e32 v5, 0
	s_lshl_b64 s[18:19], s[10:11], 3
	s_mov_b64 s[20:21], 0
	v_mov_b32_e32 v2, 0
	s_xor_b64 s[22:23], vcc, -1
                                        ; implicit-def: $vgpr9_vgpr10
	s_branch .LBB17_4
.LBB17_2:                               ;   in Loop: Header=BB17_4 Depth=1
	s_or_b64 exec, exec, s[14:15]
	v_mov_b32_e32 v1, v7
	v_mov_b32_e32 v3, v11
	;; [unrolled: 1-line block ×4, first 2 shown]
.LBB17_3:                               ;   in Loop: Header=BB17_4 Depth=1
	s_or_b64 exec, exec, s[12:13]
	s_add_u32 s20, s20, s7
	v_mov_b32_e32 v6, s16
	s_addc_u32 s21, s21, 0
	v_mov_b32_e32 v7, s17
	v_cmp_ge_i64_e32 vcc, s[20:21], v[6:7]
	v_mov_b32_e32 v8, s19
	v_add_co_u32_e64 v15, s[10:11], s18, v15
	v_addc_co_u32_e64 v16, s[10:11], v16, v8, s[10:11]
	s_cbranch_vccnz .LBB17_54
.LBB17_4:                               ; =>This Inner Loop Header: Depth=1
	v_mov_b32_e32 v7, s21
	v_add_co_u32_e32 v6, vcc, s20, v28
	v_addc_co_u32_e32 v7, vcc, 0, v7, vcc
	v_cmp_gt_i64_e32 vcc, s[16:17], v[6:7]
	v_mov_b32_e32 v11, 0
	v_mov_b32_e32 v12, 0
	s_and_saveexec_b64 s[10:11], vcc
	s_cbranch_execz .LBB17_6
; %bb.5:                                ;   in Loop: Header=BB17_4 Depth=1
	flat_load_dwordx2 v[9:10], v[15:16]
	v_add_co_u32_e32 v11, vcc, 1, v6
	v_addc_co_u32_e32 v12, vcc, 0, v7, vcc
	s_waitcnt vmcnt(0) lgkmcnt(0)
	v_cmp_gt_f64_e32 vcc, 0, v[9:10]
	v_xor_b32_e32 v6, 0x80000000, v10
	v_cndmask_b32_e32 v10, v10, v6, vcc
.LBB17_6:                               ;   in Loop: Header=BB17_4 Depth=1
	s_or_b64 exec, exec, s[10:11]
	s_and_saveexec_b64 s[10:11], s[0:1]
; %bb.7:                                ;   in Loop: Header=BB17_4 Depth=1
	v_mov_b32_e32 v6, v5
	v_mov_b32_e32 v7, v5
	;; [unrolled: 1-line block ×3, first 2 shown]
	ds_write_b128 v21, v[5:8]
; %bb.8:                                ;   in Loop: Header=BB17_4 Depth=1
	s_or_b64 exec, exec, s[10:11]
	ds_bpermute_b32 v6, v22, v11
	ds_bpermute_b32 v7, v22, v12
	;; [unrolled: 1-line block ×4, first 2 shown]
	v_mov_b32_e32 v14, v10
	v_mov_b32_e32 v13, v9
	s_waitcnt lgkmcnt(2)
	v_cmp_ne_u64_e32 vcc, 0, v[6:7]
	s_waitcnt lgkmcnt(0)
	s_barrier
	s_and_saveexec_b64 s[12:13], vcc
	s_cbranch_execz .LBB17_12
; %bb.9:                                ;   in Loop: Header=BB17_4 Depth=1
	v_cmp_ngt_f64_e32 vcc, v[9:10], v[17:18]
	v_cmp_ne_u64_e64 s[10:11], 0, v[11:12]
	v_mov_b32_e32 v13, v17
	v_mov_b32_e32 v14, v18
	s_and_b64 s[10:11], s[10:11], vcc
	s_and_saveexec_b64 s[14:15], s[10:11]
	s_cbranch_execz .LBB17_11
; %bb.10:                               ;   in Loop: Header=BB17_4 Depth=1
	v_cmp_eq_f64_e64 s[10:11], v[9:10], v[17:18]
	v_cmp_lt_i64_e32 vcc, v[6:7], v[11:12]
	v_mov_b32_e32 v14, v10
	v_cndmask_b32_e32 v7, v12, v7, vcc
	v_mov_b32_e32 v13, v9
	v_mov_b32_e32 v17, v9
	;; [unrolled: 1-line block ×3, first 2 shown]
	s_and_b64 vcc, s[10:11], vcc
	v_cndmask_b32_e64 v7, v12, v7, s[10:11]
	v_cndmask_b32_e32 v6, v11, v6, vcc
.LBB17_11:                              ;   in Loop: Header=BB17_4 Depth=1
	s_or_b64 exec, exec, s[14:15]
	v_mov_b32_e32 v12, v7
	v_mov_b32_e32 v10, v18
	;; [unrolled: 1-line block ×4, first 2 shown]
.LBB17_12:                              ;   in Loop: Header=BB17_4 Depth=1
	s_or_b64 exec, exec, s[12:13]
	ds_bpermute_b32 v6, v23, v11
	ds_bpermute_b32 v7, v23, v12
	;; [unrolled: 1-line block ×4, first 2 shown]
	s_waitcnt lgkmcnt(2)
	v_cmp_ne_u64_e32 vcc, 0, v[6:7]
	s_and_saveexec_b64 s[12:13], vcc
	s_cbranch_execz .LBB17_16
; %bb.13:                               ;   in Loop: Header=BB17_4 Depth=1
	s_waitcnt lgkmcnt(0)
	v_cmp_ngt_f64_e32 vcc, v[13:14], v[17:18]
	v_cmp_ne_u64_e64 s[10:11], 0, v[11:12]
	v_mov_b32_e32 v20, v18
	v_mov_b32_e32 v19, v17
	s_and_b64 s[10:11], s[10:11], vcc
	s_and_saveexec_b64 s[14:15], s[10:11]
	s_cbranch_execz .LBB17_15
; %bb.14:                               ;   in Loop: Header=BB17_4 Depth=1
	v_cmp_eq_f64_e64 s[10:11], v[13:14], v[17:18]
	v_cmp_lt_i64_e32 vcc, v[6:7], v[11:12]
	v_mov_b32_e32 v20, v14
	v_cndmask_b32_e32 v7, v12, v7, vcc
	v_mov_b32_e32 v19, v13
	v_mov_b32_e32 v17, v9
	v_mov_b32_e32 v18, v10
	s_and_b64 vcc, s[10:11], vcc
	v_cndmask_b32_e64 v7, v12, v7, s[10:11]
	v_cndmask_b32_e32 v6, v11, v6, vcc
.LBB17_15:                              ;   in Loop: Header=BB17_4 Depth=1
	s_or_b64 exec, exec, s[14:15]
	v_mov_b32_e32 v12, v7
	v_mov_b32_e32 v13, v19
	v_mov_b32_e32 v10, v18
	v_mov_b32_e32 v9, v17
	v_mov_b32_e32 v11, v6
	v_mov_b32_e32 v14, v20
.LBB17_16:                              ;   in Loop: Header=BB17_4 Depth=1
	s_or_b64 exec, exec, s[12:13]
	ds_bpermute_b32 v6, v24, v11
	ds_bpermute_b32 v7, v24, v12
	s_waitcnt lgkmcnt(3)
	ds_bpermute_b32 v17, v24, v9
	s_waitcnt lgkmcnt(3)
	ds_bpermute_b32 v18, v24, v10
	s_waitcnt lgkmcnt(2)
	v_cmp_ne_u64_e32 vcc, 0, v[6:7]
	s_and_saveexec_b64 s[12:13], vcc
	s_cbranch_execz .LBB17_20
; %bb.17:                               ;   in Loop: Header=BB17_4 Depth=1
	s_waitcnt lgkmcnt(0)
	v_cmp_ngt_f64_e32 vcc, v[13:14], v[17:18]
	v_cmp_ne_u64_e64 s[10:11], 0, v[11:12]
	v_mov_b32_e32 v20, v18
	v_mov_b32_e32 v19, v17
	s_and_b64 s[10:11], s[10:11], vcc
	s_and_saveexec_b64 s[14:15], s[10:11]
	s_cbranch_execz .LBB17_19
; %bb.18:                               ;   in Loop: Header=BB17_4 Depth=1
	v_cmp_eq_f64_e64 s[10:11], v[13:14], v[17:18]
	v_cmp_lt_i64_e32 vcc, v[6:7], v[11:12]
	v_mov_b32_e32 v20, v14
	v_cndmask_b32_e32 v7, v12, v7, vcc
	v_mov_b32_e32 v19, v13
	v_mov_b32_e32 v17, v9
	v_mov_b32_e32 v18, v10
	s_and_b64 vcc, s[10:11], vcc
	v_cndmask_b32_e64 v7, v12, v7, s[10:11]
	v_cndmask_b32_e32 v6, v11, v6, vcc
.LBB17_19:                              ;   in Loop: Header=BB17_4 Depth=1
	s_or_b64 exec, exec, s[14:15]
	v_mov_b32_e32 v12, v7
	v_mov_b32_e32 v13, v19
	v_mov_b32_e32 v10, v18
	v_mov_b32_e32 v9, v17
	v_mov_b32_e32 v11, v6
	v_mov_b32_e32 v14, v20
.LBB17_20:                              ;   in Loop: Header=BB17_4 Depth=1
	s_or_b64 exec, exec, s[12:13]
	ds_bpermute_b32 v6, v25, v11
	ds_bpermute_b32 v7, v25, v12
	s_waitcnt lgkmcnt(3)
	ds_bpermute_b32 v17, v25, v9
	s_waitcnt lgkmcnt(3)
	ds_bpermute_b32 v18, v25, v10
	;; [unrolled: 40-line block ×3, first 2 shown]
	s_waitcnt lgkmcnt(2)
	v_cmp_ne_u64_e32 vcc, 0, v[6:7]
	s_and_saveexec_b64 s[12:13], vcc
	s_cbranch_execz .LBB17_28
; %bb.25:                               ;   in Loop: Header=BB17_4 Depth=1
	s_waitcnt lgkmcnt(0)
	v_cmp_ngt_f64_e32 vcc, v[13:14], v[17:18]
	v_cmp_ne_u64_e64 s[10:11], 0, v[11:12]
	v_mov_b32_e32 v20, v18
	v_mov_b32_e32 v19, v17
	s_and_b64 s[10:11], s[10:11], vcc
	s_and_saveexec_b64 s[14:15], s[10:11]
	s_cbranch_execz .LBB17_27
; %bb.26:                               ;   in Loop: Header=BB17_4 Depth=1
	v_cmp_eq_f64_e64 s[10:11], v[13:14], v[17:18]
	v_cmp_lt_i64_e32 vcc, v[6:7], v[11:12]
	v_mov_b32_e32 v20, v14
	v_cndmask_b32_e32 v7, v12, v7, vcc
	v_mov_b32_e32 v19, v13
	v_mov_b32_e32 v17, v9
	v_mov_b32_e32 v18, v10
	s_and_b64 vcc, s[10:11], vcc
	v_cndmask_b32_e64 v7, v12, v7, s[10:11]
	v_cndmask_b32_e32 v6, v11, v6, vcc
.LBB17_27:                              ;   in Loop: Header=BB17_4 Depth=1
	s_or_b64 exec, exec, s[14:15]
	v_mov_b32_e32 v12, v7
	v_mov_b32_e32 v13, v19
	v_mov_b32_e32 v10, v18
	v_mov_b32_e32 v9, v17
	v_mov_b32_e32 v11, v6
	v_mov_b32_e32 v14, v20
.LBB17_28:                              ;   in Loop: Header=BB17_4 Depth=1
	s_or_b64 exec, exec, s[12:13]
	ds_bpermute_b32 v6, v27, v11
	ds_bpermute_b32 v7, v27, v12
	ds_bpermute_b32 v8, v27, v9
	ds_bpermute_b32 v10, v27, v10
	s_waitcnt lgkmcnt(2)
	v_cmp_ne_u64_e32 vcc, 0, v[6:7]
	s_and_saveexec_b64 s[26:27], vcc
	s_cbranch_execz .LBB17_30
; %bb.29:                               ;   in Loop: Header=BB17_4 Depth=1
	s_waitcnt lgkmcnt(0)
	v_mov_b32_e32 v9, v10
	v_cmp_eq_f64_e32 vcc, v[13:14], v[8:9]
	v_cmp_gt_f64_e64 s[10:11], v[13:14], v[8:9]
	v_cmp_lt_i64_e64 s[12:13], v[6:7], v[11:12]
	v_cmp_eq_u64_e64 s[14:15], 0, v[11:12]
	s_and_b64 s[12:13], vcc, s[12:13]
	s_or_b64 vcc, s[14:15], s[10:11]
	s_or_b64 s[10:11], vcc, s[12:13]
	v_cndmask_b32_e32 v14, v14, v10, vcc
	v_cndmask_b32_e64 v12, v12, v7, s[10:11]
	v_cndmask_b32_e64 v11, v11, v6, s[10:11]
	v_cndmask_b32_e32 v13, v13, v8, vcc
.LBB17_30:                              ;   in Loop: Header=BB17_4 Depth=1
	s_or_b64 exec, exec, s[26:27]
	s_and_saveexec_b64 s[10:11], s[2:3]
; %bb.31:                               ;   in Loop: Header=BB17_4 Depth=1
	ds_write_b128 v29, v[11:14]
; %bb.32:                               ;   in Loop: Header=BB17_4 Depth=1
	s_or_b64 exec, exec, s[10:11]
	s_waitcnt lgkmcnt(0)
	v_mov_b32_e32 v9, 0
	v_mov_b32_e32 v7, 0
	;; [unrolled: 1-line block ×4, first 2 shown]
	s_barrier
	s_and_saveexec_b64 s[10:11], s[8:9]
; %bb.33:                               ;   in Loop: Header=BB17_4 Depth=1
	ds_read_b128 v[7:10], v21
; %bb.34:                               ;   in Loop: Header=BB17_4 Depth=1
	s_or_b64 exec, exec, s[10:11]
	s_and_saveexec_b64 s[26:27], s[0:1]
	s_cbranch_execz .LBB17_50
; %bb.35:                               ;   in Loop: Header=BB17_4 Depth=1
	s_waitcnt lgkmcnt(0)
	ds_bpermute_b32 v13, v24, v7
	ds_bpermute_b32 v14, v24, v8
	;; [unrolled: 1-line block ×4, first 2 shown]
	v_mov_b32_e32 v12, v10
	v_mov_b32_e32 v11, v9
	s_waitcnt lgkmcnt(2)
	v_cmp_ne_u64_e32 vcc, 0, v[13:14]
	s_and_saveexec_b64 s[12:13], vcc
	s_cbranch_execz .LBB17_39
; %bb.36:                               ;   in Loop: Header=BB17_4 Depth=1
	s_waitcnt lgkmcnt(0)
	v_cmp_ngt_f64_e32 vcc, v[9:10], v[17:18]
	v_cmp_ne_u64_e64 s[10:11], 0, v[7:8]
	v_mov_b32_e32 v11, v17
	v_mov_b32_e32 v12, v18
	s_and_b64 s[10:11], s[10:11], vcc
	s_and_saveexec_b64 s[14:15], s[10:11]
	s_cbranch_execz .LBB17_38
; %bb.37:                               ;   in Loop: Header=BB17_4 Depth=1
	v_cmp_eq_f64_e64 s[10:11], v[9:10], v[17:18]
	v_cmp_lt_i64_e32 vcc, v[13:14], v[7:8]
	v_mov_b32_e32 v12, v10
	v_cndmask_b32_e32 v6, v8, v14, vcc
	v_mov_b32_e32 v11, v9
	v_mov_b32_e32 v17, v9
	;; [unrolled: 1-line block ×3, first 2 shown]
	s_and_b64 vcc, s[10:11], vcc
	v_cndmask_b32_e64 v14, v8, v6, s[10:11]
	v_cndmask_b32_e32 v13, v7, v13, vcc
.LBB17_38:                              ;   in Loop: Header=BB17_4 Depth=1
	s_or_b64 exec, exec, s[14:15]
	v_mov_b32_e32 v7, v13
	v_mov_b32_e32 v10, v18
	;; [unrolled: 1-line block ×4, first 2 shown]
.LBB17_39:                              ;   in Loop: Header=BB17_4 Depth=1
	s_or_b64 exec, exec, s[12:13]
	ds_bpermute_b32 v13, v25, v7
	ds_bpermute_b32 v14, v25, v8
	s_waitcnt lgkmcnt(3)
	ds_bpermute_b32 v17, v25, v9
	s_waitcnt lgkmcnt(3)
	ds_bpermute_b32 v18, v25, v10
	s_waitcnt lgkmcnt(2)
	v_cmp_ne_u64_e32 vcc, 0, v[13:14]
	s_and_saveexec_b64 s[12:13], vcc
	s_cbranch_execz .LBB17_43
; %bb.40:                               ;   in Loop: Header=BB17_4 Depth=1
	s_waitcnt lgkmcnt(0)
	v_cmp_ngt_f64_e32 vcc, v[11:12], v[17:18]
	v_cmp_ne_u64_e64 s[10:11], 0, v[7:8]
	v_mov_b32_e32 v20, v18
	v_mov_b32_e32 v19, v17
	s_and_b64 s[10:11], s[10:11], vcc
	s_and_saveexec_b64 s[14:15], s[10:11]
	s_cbranch_execz .LBB17_42
; %bb.41:                               ;   in Loop: Header=BB17_4 Depth=1
	v_cmp_eq_f64_e64 s[10:11], v[11:12], v[17:18]
	v_cmp_lt_i64_e32 vcc, v[13:14], v[7:8]
	v_mov_b32_e32 v20, v12
	v_cndmask_b32_e32 v6, v8, v14, vcc
	v_mov_b32_e32 v19, v11
	v_mov_b32_e32 v17, v9
	;; [unrolled: 1-line block ×3, first 2 shown]
	s_and_b64 vcc, s[10:11], vcc
	v_cndmask_b32_e64 v14, v8, v6, s[10:11]
	v_cndmask_b32_e32 v13, v7, v13, vcc
.LBB17_42:                              ;   in Loop: Header=BB17_4 Depth=1
	s_or_b64 exec, exec, s[14:15]
	v_mov_b32_e32 v7, v13
	v_mov_b32_e32 v11, v19
	;; [unrolled: 1-line block ×6, first 2 shown]
.LBB17_43:                              ;   in Loop: Header=BB17_4 Depth=1
	s_or_b64 exec, exec, s[12:13]
	ds_bpermute_b32 v13, v26, v7
	ds_bpermute_b32 v14, v26, v8
	s_waitcnt lgkmcnt(3)
	ds_bpermute_b32 v17, v26, v9
	s_waitcnt lgkmcnt(3)
	;; [unrolled: 2-line block ×3, first 2 shown]
	v_cmp_ne_u64_e32 vcc, 0, v[13:14]
	s_and_saveexec_b64 s[12:13], vcc
	s_cbranch_execz .LBB17_47
; %bb.44:                               ;   in Loop: Header=BB17_4 Depth=1
	s_waitcnt lgkmcnt(0)
	v_cmp_ngt_f64_e32 vcc, v[11:12], v[17:18]
	v_cmp_ne_u64_e64 s[10:11], 0, v[7:8]
	v_mov_b32_e32 v20, v18
	v_mov_b32_e32 v19, v17
	s_and_b64 s[10:11], s[10:11], vcc
	s_and_saveexec_b64 s[14:15], s[10:11]
	s_cbranch_execz .LBB17_46
; %bb.45:                               ;   in Loop: Header=BB17_4 Depth=1
	v_cmp_eq_f64_e64 s[10:11], v[11:12], v[17:18]
	v_cmp_lt_i64_e32 vcc, v[13:14], v[7:8]
	v_mov_b32_e32 v20, v12
	v_cndmask_b32_e32 v6, v8, v14, vcc
	v_mov_b32_e32 v19, v11
	v_mov_b32_e32 v17, v9
	;; [unrolled: 1-line block ×3, first 2 shown]
	s_and_b64 vcc, s[10:11], vcc
	v_cndmask_b32_e64 v14, v8, v6, s[10:11]
	v_cndmask_b32_e32 v13, v7, v13, vcc
.LBB17_46:                              ;   in Loop: Header=BB17_4 Depth=1
	s_or_b64 exec, exec, s[14:15]
	v_mov_b32_e32 v7, v13
	v_mov_b32_e32 v11, v19
	;; [unrolled: 1-line block ×6, first 2 shown]
.LBB17_47:                              ;   in Loop: Header=BB17_4 Depth=1
	s_or_b64 exec, exec, s[12:13]
	ds_bpermute_b32 v13, v27, v7
	ds_bpermute_b32 v14, v27, v8
	;; [unrolled: 1-line block ×4, first 2 shown]
	s_waitcnt lgkmcnt(2)
	v_cmp_ne_u64_e32 vcc, 0, v[13:14]
	s_and_saveexec_b64 s[28:29], vcc
	s_cbranch_execz .LBB17_49
; %bb.48:                               ;   in Loop: Header=BB17_4 Depth=1
	s_waitcnt lgkmcnt(0)
	v_mov_b32_e32 v10, v6
	v_cmp_eq_f64_e32 vcc, v[11:12], v[9:10]
	v_cmp_gt_f64_e64 s[10:11], v[11:12], v[9:10]
	v_cmp_lt_i64_e64 s[12:13], v[13:14], v[7:8]
	v_cmp_eq_u64_e64 s[14:15], 0, v[7:8]
	s_and_b64 s[12:13], vcc, s[12:13]
	s_or_b64 vcc, s[14:15], s[10:11]
	s_or_b64 s[10:11], vcc, s[12:13]
	v_cndmask_b32_e32 v12, v12, v6, vcc
	v_cndmask_b32_e64 v8, v8, v14, s[10:11]
	v_cndmask_b32_e64 v7, v7, v13, s[10:11]
	v_cndmask_b32_e32 v11, v11, v9, vcc
.LBB17_49:                              ;   in Loop: Header=BB17_4 Depth=1
	s_or_b64 exec, exec, s[28:29]
	s_waitcnt lgkmcnt(1)
	v_mov_b32_e32 v9, v11
	v_mov_b32_e32 v10, v12
.LBB17_50:                              ;   in Loop: Header=BB17_4 Depth=1
	s_or_b64 exec, exec, s[26:27]
	s_waitcnt lgkmcnt(0)
	v_cmp_ne_u64_e32 vcc, 0, v[7:8]
	s_and_b64 s[10:11], s[22:23], vcc
	s_and_saveexec_b64 s[12:13], s[10:11]
	s_cbranch_execz .LBB17_3
; %bb.51:                               ;   in Loop: Header=BB17_4 Depth=1
	v_cmp_nlt_f64_e32 vcc, v[9:10], v[3:4]
	v_cmp_ne_u64_e64 s[10:11], 0, v[1:2]
	v_mov_b32_e32 v12, v10
	v_mov_b32_e32 v11, v9
	s_and_b64 s[10:11], s[10:11], vcc
	s_and_saveexec_b64 s[14:15], s[10:11]
	s_cbranch_execz .LBB17_2
; %bb.52:                               ;   in Loop: Header=BB17_4 Depth=1
	v_cmp_eq_f64_e64 s[10:11], v[3:4], v[9:10]
	v_cmp_lt_i64_e32 vcc, v[7:8], v[1:2]
	v_mov_b32_e32 v12, v4
	v_cndmask_b32_e32 v6, v2, v8, vcc
	v_mov_b32_e32 v11, v3
	s_and_b64 vcc, s[10:11], vcc
	v_cndmask_b32_e64 v8, v2, v6, s[10:11]
	v_cndmask_b32_e32 v7, v1, v7, vcc
	s_branch .LBB17_2
.LBB17_53:
	v_mov_b32_e32 v1, 0
	v_mov_b32_e32 v2, 0
.LBB17_54:
	s_mov_b32 s7, 0
	v_cmp_eq_u32_e32 vcc, 0, v0
	s_and_saveexec_b64 s[0:1], vcc
	s_cbranch_execz .LBB17_56
; %bb.55:
	s_load_dword s2, s[4:5], 0x30
	s_load_dwordx2 s[0:1], s[4:5], 0x28
	v_mov_b32_e32 v0, 0
	s_waitcnt lgkmcnt(0)
	s_mul_hi_u32 s3, s2, s24
	s_mul_i32 s2, s2, s24
	s_lshl_b64 s[2:3], s[2:3], 4
	s_add_u32 s2, s0, s2
	s_addc_u32 s3, s1, s3
	s_lshl_b64 s[0:1], s[6:7], 4
	s_add_u32 s0, s2, s0
	s_addc_u32 s1, s3, s1
	global_store_dwordx4 v0, v[1:4], s[0:1]
.LBB17_56:
	s_endpgm
	.section	.rodata,"a",@progbits
	.p2align	6, 0x0
	.amdhsa_kernel _ZL35rocblas_iamax_iamin_kernel_part1_64ILi1024E26rocblas_fetch_amax_amin_64IdE22rocblas_reduce_amin_64PKPKd24rocblas_index_64_value_tIdEEvlT2_lllPT3_
		.amdhsa_group_segment_fixed_size 1024
		.amdhsa_private_segment_fixed_size 0
		.amdhsa_kernarg_size 304
		.amdhsa_user_sgpr_count 6
		.amdhsa_user_sgpr_private_segment_buffer 1
		.amdhsa_user_sgpr_dispatch_ptr 0
		.amdhsa_user_sgpr_queue_ptr 0
		.amdhsa_user_sgpr_kernarg_segment_ptr 1
		.amdhsa_user_sgpr_dispatch_id 0
		.amdhsa_user_sgpr_flat_scratch_init 0
		.amdhsa_user_sgpr_private_segment_size 0
		.amdhsa_uses_dynamic_stack 0
		.amdhsa_system_sgpr_private_segment_wavefront_offset 0
		.amdhsa_system_sgpr_workgroup_id_x 1
		.amdhsa_system_sgpr_workgroup_id_y 0
		.amdhsa_system_sgpr_workgroup_id_z 1
		.amdhsa_system_sgpr_workgroup_info 0
		.amdhsa_system_vgpr_workitem_id 0
		.amdhsa_next_free_vgpr 30
		.amdhsa_next_free_sgpr 30
		.amdhsa_reserve_vcc 1
		.amdhsa_reserve_flat_scratch 0
		.amdhsa_float_round_mode_32 0
		.amdhsa_float_round_mode_16_64 0
		.amdhsa_float_denorm_mode_32 3
		.amdhsa_float_denorm_mode_16_64 3
		.amdhsa_dx10_clamp 1
		.amdhsa_ieee_mode 1
		.amdhsa_fp16_overflow 0
		.amdhsa_exception_fp_ieee_invalid_op 0
		.amdhsa_exception_fp_denorm_src 0
		.amdhsa_exception_fp_ieee_div_zero 0
		.amdhsa_exception_fp_ieee_overflow 0
		.amdhsa_exception_fp_ieee_underflow 0
		.amdhsa_exception_fp_ieee_inexact 0
		.amdhsa_exception_int_div_zero 0
	.end_amdhsa_kernel
	.section	.text._ZL35rocblas_iamax_iamin_kernel_part1_64ILi1024E26rocblas_fetch_amax_amin_64IdE22rocblas_reduce_amin_64PKPKd24rocblas_index_64_value_tIdEEvlT2_lllPT3_,"axG",@progbits,_ZL35rocblas_iamax_iamin_kernel_part1_64ILi1024E26rocblas_fetch_amax_amin_64IdE22rocblas_reduce_amin_64PKPKd24rocblas_index_64_value_tIdEEvlT2_lllPT3_,comdat
.Lfunc_end17:
	.size	_ZL35rocblas_iamax_iamin_kernel_part1_64ILi1024E26rocblas_fetch_amax_amin_64IdE22rocblas_reduce_amin_64PKPKd24rocblas_index_64_value_tIdEEvlT2_lllPT3_, .Lfunc_end17-_ZL35rocblas_iamax_iamin_kernel_part1_64ILi1024E26rocblas_fetch_amax_amin_64IdE22rocblas_reduce_amin_64PKPKd24rocblas_index_64_value_tIdEEvlT2_lllPT3_
                                        ; -- End function
	.set _ZL35rocblas_iamax_iamin_kernel_part1_64ILi1024E26rocblas_fetch_amax_amin_64IdE22rocblas_reduce_amin_64PKPKd24rocblas_index_64_value_tIdEEvlT2_lllPT3_.num_vgpr, 30
	.set _ZL35rocblas_iamax_iamin_kernel_part1_64ILi1024E26rocblas_fetch_amax_amin_64IdE22rocblas_reduce_amin_64PKPKd24rocblas_index_64_value_tIdEEvlT2_lllPT3_.num_agpr, 0
	.set _ZL35rocblas_iamax_iamin_kernel_part1_64ILi1024E26rocblas_fetch_amax_amin_64IdE22rocblas_reduce_amin_64PKPKd24rocblas_index_64_value_tIdEEvlT2_lllPT3_.numbered_sgpr, 30
	.set _ZL35rocblas_iamax_iamin_kernel_part1_64ILi1024E26rocblas_fetch_amax_amin_64IdE22rocblas_reduce_amin_64PKPKd24rocblas_index_64_value_tIdEEvlT2_lllPT3_.num_named_barrier, 0
	.set _ZL35rocblas_iamax_iamin_kernel_part1_64ILi1024E26rocblas_fetch_amax_amin_64IdE22rocblas_reduce_amin_64PKPKd24rocblas_index_64_value_tIdEEvlT2_lllPT3_.private_seg_size, 0
	.set _ZL35rocblas_iamax_iamin_kernel_part1_64ILi1024E26rocblas_fetch_amax_amin_64IdE22rocblas_reduce_amin_64PKPKd24rocblas_index_64_value_tIdEEvlT2_lllPT3_.uses_vcc, 1
	.set _ZL35rocblas_iamax_iamin_kernel_part1_64ILi1024E26rocblas_fetch_amax_amin_64IdE22rocblas_reduce_amin_64PKPKd24rocblas_index_64_value_tIdEEvlT2_lllPT3_.uses_flat_scratch, 0
	.set _ZL35rocblas_iamax_iamin_kernel_part1_64ILi1024E26rocblas_fetch_amax_amin_64IdE22rocblas_reduce_amin_64PKPKd24rocblas_index_64_value_tIdEEvlT2_lllPT3_.has_dyn_sized_stack, 0
	.set _ZL35rocblas_iamax_iamin_kernel_part1_64ILi1024E26rocblas_fetch_amax_amin_64IdE22rocblas_reduce_amin_64PKPKd24rocblas_index_64_value_tIdEEvlT2_lllPT3_.has_recursion, 0
	.set _ZL35rocblas_iamax_iamin_kernel_part1_64ILi1024E26rocblas_fetch_amax_amin_64IdE22rocblas_reduce_amin_64PKPKd24rocblas_index_64_value_tIdEEvlT2_lllPT3_.has_indirect_call, 0
	.section	.AMDGPU.csdata,"",@progbits
; Kernel info:
; codeLenInByte = 2400
; TotalNumSgprs: 34
; NumVgprs: 30
; ScratchSize: 0
; MemoryBound: 0
; FloatMode: 240
; IeeeMode: 1
; LDSByteSize: 1024 bytes/workgroup (compile time only)
; SGPRBlocks: 4
; VGPRBlocks: 7
; NumSGPRsForWavesPerEU: 34
; NumVGPRsForWavesPerEU: 30
; Occupancy: 8
; WaveLimiterHint : 0
; COMPUTE_PGM_RSRC2:SCRATCH_EN: 0
; COMPUTE_PGM_RSRC2:USER_SGPR: 6
; COMPUTE_PGM_RSRC2:TRAP_HANDLER: 0
; COMPUTE_PGM_RSRC2:TGID_X_EN: 1
; COMPUTE_PGM_RSRC2:TGID_Y_EN: 0
; COMPUTE_PGM_RSRC2:TGID_Z_EN: 1
; COMPUTE_PGM_RSRC2:TIDIG_COMP_CNT: 0
	.section	.text._ZL35rocblas_iamax_iamin_kernel_part1_64ILi1024E26rocblas_fetch_amax_amin_64IfE22rocblas_reduce_amin_64PKPK19rocblas_complex_numIfE24rocblas_index_64_value_tIfEEvlT2_lllPT3_,"axG",@progbits,_ZL35rocblas_iamax_iamin_kernel_part1_64ILi1024E26rocblas_fetch_amax_amin_64IfE22rocblas_reduce_amin_64PKPK19rocblas_complex_numIfE24rocblas_index_64_value_tIfEEvlT2_lllPT3_,comdat
	.globl	_ZL35rocblas_iamax_iamin_kernel_part1_64ILi1024E26rocblas_fetch_amax_amin_64IfE22rocblas_reduce_amin_64PKPK19rocblas_complex_numIfE24rocblas_index_64_value_tIfEEvlT2_lllPT3_ ; -- Begin function _ZL35rocblas_iamax_iamin_kernel_part1_64ILi1024E26rocblas_fetch_amax_amin_64IfE22rocblas_reduce_amin_64PKPK19rocblas_complex_numIfE24rocblas_index_64_value_tIfEEvlT2_lllPT3_
	.p2align	8
	.type	_ZL35rocblas_iamax_iamin_kernel_part1_64ILi1024E26rocblas_fetch_amax_amin_64IfE22rocblas_reduce_amin_64PKPK19rocblas_complex_numIfE24rocblas_index_64_value_tIfEEvlT2_lllPT3_,@function
_ZL35rocblas_iamax_iamin_kernel_part1_64ILi1024E26rocblas_fetch_amax_amin_64IfE22rocblas_reduce_amin_64PKPK19rocblas_complex_numIfE24rocblas_index_64_value_tIfEEvlT2_lllPT3_: ; @_ZL35rocblas_iamax_iamin_kernel_part1_64ILi1024E26rocblas_fetch_amax_amin_64IfE22rocblas_reduce_amin_64PKPK19rocblas_complex_numIfE24rocblas_index_64_value_tIfEEvlT2_lllPT3_
; %bb.0:
	s_load_dwordx8 s[16:23], s[4:5], 0x0
	s_mov_b32 s24, s7
	s_mov_b32 s25, 0
	s_waitcnt lgkmcnt(0)
	v_cmp_lt_i64_e64 s[0:1], s[16:17], 1
	s_and_b64 vcc, exec, s[0:1]
	s_cbranch_vccnz .LBB18_53
; %bb.1:
	v_mbcnt_lo_u32_b32 v2, -1, 0
	v_mbcnt_hi_u32_b32 v2, -1, v2
	v_and_b32_e32 v3, 63, v2
	v_mov_b32_e32 v4, 0x80
	v_cmp_gt_u32_e32 vcc, 48, v3
	v_lshl_or_b32 v13, v2, 2, v4
	v_cndmask_b32_e64 v4, 0, 16, vcc
	v_cmp_gt_u32_e32 vcc, 56, v3
	v_add_lshl_u32 v14, v4, v2, 2
	v_cndmask_b32_e64 v4, 0, 8, vcc
	v_cmp_gt_u32_e32 vcc, 60, v3
	v_add_lshl_u32 v15, v4, v2, 2
	;; [unrolled: 3-line block ×3, first 2 shown]
	v_cndmask_b32_e64 v4, 0, 2, vcc
	v_cmp_ne_u32_e32 vcc, 63, v3
	v_and_b32_e32 v1, 63, v0
	v_add_lshl_u32 v17, v4, v2, 2
	v_addc_co_u32_e32 v2, vcc, 0, v2, vcc
	v_lshl_or_b32 v19, s6, 10, v0
	s_lshl_b64 s[0:1], s[24:25], 3
	v_lshlrev_b32_e32 v12, 4, v1
	v_lshlrev_b32_e32 v18, 2, v2
	v_cmp_eq_u32_e64 s[2:3], 0, v1
	v_mad_u64_u32 v[1:2], s[8:9], s22, v19, 0
	s_add_u32 s0, s18, s0
	s_addc_u32 s1, s19, s1
	s_load_dword s7, s[4:5], 0x30
	s_load_dwordx2 s[10:11], s[0:1], 0x0
	v_lshrrev_b32_e32 v3, 2, v0
	v_and_b32_e32 v20, 0xf0, v3
	v_mad_u64_u32 v[2:3], s[12:13], s23, v19, v[2:3]
	s_waitcnt lgkmcnt(0)
	s_lshl_b32 s7, s7, 10
	s_lshl_b64 s[12:13], s[20:21], 3
	v_lshlrev_b64 v[1:2], 3, v[1:2]
	s_add_u32 s10, s10, s12
	s_addc_u32 s11, s11, s13
	v_mov_b32_e32 v3, s11
	v_add_co_u32_e64 v6, s[10:11], s10, v1
	v_addc_co_u32_e64 v7, s[10:11], v3, v2, s[10:11]
	s_mul_i32 s10, s23, s7
	s_mul_hi_u32 s11, s22, s7
	v_cmp_ne_u32_e32 vcc, 0, v0
	s_add_i32 s11, s11, s10
	s_mul_i32 s10, s22, s7
	v_mov_b32_e32 v1, 0
	v_cmp_gt_u32_e64 s[0:1], 64, v0
	v_cmp_gt_u32_e64 s[8:9], 16, v0
	v_mov_b32_e32 v4, 0
	s_lshl_b64 s[18:19], s[10:11], 3
	s_mov_b64 s[20:21], 0
	v_mov_b32_e32 v2, 0
	s_xor_b64 s[22:23], vcc, -1
                                        ; implicit-def: $vgpr21
	s_branch .LBB18_4
.LBB18_2:                               ;   in Loop: Header=BB18_4 Depth=1
	s_or_b64 exec, exec, s[14:15]
	v_mov_b32_e32 v1, v8
	v_mov_b32_e32 v2, v9
	;; [unrolled: 1-line block ×3, first 2 shown]
.LBB18_3:                               ;   in Loop: Header=BB18_4 Depth=1
	s_or_b64 exec, exec, s[12:13]
	s_add_u32 s20, s20, s7
	v_mov_b32_e32 v8, s16
	s_addc_u32 s21, s21, 0
	v_mov_b32_e32 v9, s17
	v_cmp_ge_i64_e32 vcc, s[20:21], v[8:9]
	v_mov_b32_e32 v5, s19
	v_add_co_u32_e64 v6, s[10:11], s18, v6
	v_addc_co_u32_e64 v7, s[10:11], v7, v5, s[10:11]
	s_cbranch_vccnz .LBB18_54
.LBB18_4:                               ; =>This Inner Loop Header: Depth=1
	v_mov_b32_e32 v5, s21
	v_add_co_u32_e32 v10, vcc, s20, v19
	v_addc_co_u32_e32 v11, vcc, 0, v5, vcc
	v_cmp_gt_i64_e32 vcc, s[16:17], v[10:11]
	v_mov_b32_e32 v8, 0
	v_mov_b32_e32 v9, 0
	s_and_saveexec_b64 s[10:11], vcc
	s_cbranch_execz .LBB18_6
; %bb.5:                                ;   in Loop: Header=BB18_4 Depth=1
	s_waitcnt lgkmcnt(0)
	flat_load_dwordx2 v[21:22], v[6:7]
	v_add_co_u32_e32 v8, vcc, 1, v10
	v_addc_co_u32_e32 v9, vcc, 0, v11, vcc
	s_waitcnt vmcnt(0) lgkmcnt(0)
	v_cmp_gt_f32_e32 vcc, 0, v21
	v_cndmask_b32_e64 v5, v21, -v21, vcc
	v_cmp_gt_f32_e32 vcc, 0, v22
	v_cndmask_b32_e64 v10, v22, -v22, vcc
	v_add_f32_e32 v21, v5, v10
.LBB18_6:                               ;   in Loop: Header=BB18_4 Depth=1
	s_or_b64 exec, exec, s[10:11]
	s_and_saveexec_b64 s[10:11], s[0:1]
	s_cbranch_execz .LBB18_8
; %bb.7:                                ;   in Loop: Header=BB18_4 Depth=1
	v_mov_b32_e32 v5, v4
	ds_write_b64 v12, v[4:5]
	ds_write_b32 v12, v4 offset:8
.LBB18_8:                               ;   in Loop: Header=BB18_4 Depth=1
	s_or_b64 exec, exec, s[10:11]
	ds_bpermute_b32 v10, v13, v8
	ds_bpermute_b32 v11, v13, v9
	s_waitcnt lgkmcnt(2)
	ds_bpermute_b32 v22, v13, v21
	v_mov_b32_e32 v5, v21
	s_waitcnt lgkmcnt(0)
	s_barrier
	v_cmp_ne_u64_e32 vcc, 0, v[10:11]
	s_and_saveexec_b64 s[12:13], vcc
	s_cbranch_execz .LBB18_12
; %bb.9:                                ;   in Loop: Header=BB18_4 Depth=1
	v_cmp_ne_u64_e32 vcc, 0, v[8:9]
	v_cmp_ngt_f32_e64 s[10:11], v21, v22
	s_and_b64 s[10:11], vcc, s[10:11]
	s_and_saveexec_b64 s[14:15], s[10:11]
; %bb.10:                               ;   in Loop: Header=BB18_4 Depth=1
	v_cmp_lt_i64_e32 vcc, v[10:11], v[8:9]
	v_cmp_eq_f32_e64 s[10:11], v21, v22
	v_cndmask_b32_e32 v5, v9, v11, vcc
	s_and_b64 vcc, s[10:11], vcc
	v_cndmask_b32_e64 v11, v9, v5, s[10:11]
	v_cndmask_b32_e32 v10, v8, v10, vcc
	v_mov_b32_e32 v22, v21
; %bb.11:                               ;   in Loop: Header=BB18_4 Depth=1
	s_or_b64 exec, exec, s[14:15]
	v_mov_b32_e32 v8, v10
	v_mov_b32_e32 v21, v22
	;; [unrolled: 1-line block ×4, first 2 shown]
.LBB18_12:                              ;   in Loop: Header=BB18_4 Depth=1
	s_or_b64 exec, exec, s[12:13]
	ds_bpermute_b32 v10, v14, v8
	ds_bpermute_b32 v11, v14, v9
	ds_bpermute_b32 v22, v14, v21
	s_waitcnt lgkmcnt(1)
	v_cmp_ne_u64_e32 vcc, 0, v[10:11]
	s_and_saveexec_b64 s[12:13], vcc
	s_cbranch_execz .LBB18_16
; %bb.13:                               ;   in Loop: Header=BB18_4 Depth=1
	v_cmp_ne_u64_e32 vcc, 0, v[8:9]
	s_waitcnt lgkmcnt(0)
	v_cmp_ngt_f32_e64 s[10:11], v5, v22
	s_and_b64 s[10:11], vcc, s[10:11]
	v_mov_b32_e32 v23, v22
	s_and_saveexec_b64 s[14:15], s[10:11]
; %bb.14:                               ;   in Loop: Header=BB18_4 Depth=1
	v_cmp_lt_i64_e32 vcc, v[10:11], v[8:9]
	v_cmp_eq_f32_e64 s[10:11], v5, v22
	v_cndmask_b32_e32 v11, v9, v11, vcc
	s_and_b64 vcc, s[10:11], vcc
	v_cndmask_b32_e64 v11, v9, v11, s[10:11]
	v_cndmask_b32_e32 v10, v8, v10, vcc
	v_mov_b32_e32 v23, v5
	v_mov_b32_e32 v22, v21
; %bb.15:                               ;   in Loop: Header=BB18_4 Depth=1
	s_or_b64 exec, exec, s[14:15]
	v_mov_b32_e32 v8, v10
	v_mov_b32_e32 v21, v22
	v_mov_b32_e32 v9, v11
	v_mov_b32_e32 v5, v23
.LBB18_16:                              ;   in Loop: Header=BB18_4 Depth=1
	s_or_b64 exec, exec, s[12:13]
	ds_bpermute_b32 v10, v15, v8
	ds_bpermute_b32 v11, v15, v9
	s_waitcnt lgkmcnt(2)
	ds_bpermute_b32 v22, v15, v21
	s_waitcnt lgkmcnt(1)
	v_cmp_ne_u64_e32 vcc, 0, v[10:11]
	s_and_saveexec_b64 s[12:13], vcc
	s_cbranch_execz .LBB18_20
; %bb.17:                               ;   in Loop: Header=BB18_4 Depth=1
	v_cmp_ne_u64_e32 vcc, 0, v[8:9]
	s_waitcnt lgkmcnt(0)
	v_cmp_ngt_f32_e64 s[10:11], v5, v22
	s_and_b64 s[10:11], vcc, s[10:11]
	v_mov_b32_e32 v23, v22
	s_and_saveexec_b64 s[14:15], s[10:11]
; %bb.18:                               ;   in Loop: Header=BB18_4 Depth=1
	v_cmp_lt_i64_e32 vcc, v[10:11], v[8:9]
	v_cmp_eq_f32_e64 s[10:11], v5, v22
	v_cndmask_b32_e32 v11, v9, v11, vcc
	s_and_b64 vcc, s[10:11], vcc
	v_cndmask_b32_e64 v11, v9, v11, s[10:11]
	v_cndmask_b32_e32 v10, v8, v10, vcc
	v_mov_b32_e32 v23, v5
	v_mov_b32_e32 v22, v21
; %bb.19:                               ;   in Loop: Header=BB18_4 Depth=1
	s_or_b64 exec, exec, s[14:15]
	v_mov_b32_e32 v8, v10
	v_mov_b32_e32 v21, v22
	v_mov_b32_e32 v9, v11
	v_mov_b32_e32 v5, v23
.LBB18_20:                              ;   in Loop: Header=BB18_4 Depth=1
	s_or_b64 exec, exec, s[12:13]
	ds_bpermute_b32 v10, v16, v8
	ds_bpermute_b32 v11, v16, v9
	s_waitcnt lgkmcnt(2)
	ds_bpermute_b32 v22, v16, v21
	;; [unrolled: 32-line block ×3, first 2 shown]
	s_waitcnt lgkmcnt(1)
	v_cmp_ne_u64_e32 vcc, 0, v[10:11]
	s_and_saveexec_b64 s[12:13], vcc
	s_cbranch_execz .LBB18_28
; %bb.25:                               ;   in Loop: Header=BB18_4 Depth=1
	v_cmp_ne_u64_e32 vcc, 0, v[8:9]
	s_waitcnt lgkmcnt(0)
	v_cmp_ngt_f32_e64 s[10:11], v5, v22
	s_and_b64 s[10:11], vcc, s[10:11]
	v_mov_b32_e32 v23, v22
	s_and_saveexec_b64 s[14:15], s[10:11]
; %bb.26:                               ;   in Loop: Header=BB18_4 Depth=1
	v_cmp_lt_i64_e32 vcc, v[10:11], v[8:9]
	v_cmp_eq_f32_e64 s[10:11], v5, v22
	v_cndmask_b32_e32 v11, v9, v11, vcc
	s_and_b64 vcc, s[10:11], vcc
	v_cndmask_b32_e64 v11, v9, v11, s[10:11]
	v_cndmask_b32_e32 v10, v8, v10, vcc
	v_mov_b32_e32 v23, v5
	v_mov_b32_e32 v22, v21
; %bb.27:                               ;   in Loop: Header=BB18_4 Depth=1
	s_or_b64 exec, exec, s[14:15]
	v_mov_b32_e32 v8, v10
	v_mov_b32_e32 v21, v22
	;; [unrolled: 1-line block ×4, first 2 shown]
.LBB18_28:                              ;   in Loop: Header=BB18_4 Depth=1
	s_or_b64 exec, exec, s[12:13]
	ds_bpermute_b32 v10, v18, v8
	ds_bpermute_b32 v11, v18, v9
	ds_bpermute_b32 v21, v18, v21
	s_waitcnt lgkmcnt(1)
	v_cmp_ne_u64_e32 vcc, 0, v[10:11]
	s_and_saveexec_b64 s[26:27], vcc
	s_cbranch_execz .LBB18_30
; %bb.29:                               ;   in Loop: Header=BB18_4 Depth=1
	v_cmp_eq_u64_e32 vcc, 0, v[8:9]
	v_cmp_lt_i64_e64 s[12:13], v[10:11], v[8:9]
	s_waitcnt lgkmcnt(0)
	v_cmp_gt_f32_e64 s[10:11], v5, v21
	v_cmp_eq_f32_e64 s[14:15], v5, v21
	s_and_b64 s[12:13], s[14:15], s[12:13]
	s_or_b64 vcc, vcc, s[10:11]
	v_cndmask_b32_e64 v9, v9, v11, s[12:13]
	s_or_b64 s[10:11], vcc, s[12:13]
	v_cndmask_b32_e32 v9, v9, v11, vcc
	v_cndmask_b32_e64 v8, v8, v10, s[10:11]
	v_cndmask_b32_e32 v5, v5, v21, vcc
.LBB18_30:                              ;   in Loop: Header=BB18_4 Depth=1
	s_or_b64 exec, exec, s[26:27]
	s_and_saveexec_b64 s[10:11], s[2:3]
	s_cbranch_execz .LBB18_32
; %bb.31:                               ;   in Loop: Header=BB18_4 Depth=1
	ds_write_b64 v20, v[8:9]
	ds_write_b32 v20, v5 offset:8
.LBB18_32:                              ;   in Loop: Header=BB18_4 Depth=1
	s_or_b64 exec, exec, s[10:11]
	v_mov_b32_e32 v8, 0
	v_mov_b32_e32 v9, 0
	s_waitcnt lgkmcnt(0)
	v_mov_b32_e32 v21, 0
	s_barrier
	s_and_saveexec_b64 s[10:11], s[8:9]
	s_cbranch_execz .LBB18_34
; %bb.33:                               ;   in Loop: Header=BB18_4 Depth=1
	ds_read_b64 v[8:9], v12
	ds_read_b32 v21, v12 offset:8
.LBB18_34:                              ;   in Loop: Header=BB18_4 Depth=1
	s_or_b64 exec, exec, s[10:11]
	s_and_saveexec_b64 s[26:27], s[0:1]
	s_cbranch_execz .LBB18_50
; %bb.35:                               ;   in Loop: Header=BB18_4 Depth=1
	s_waitcnt lgkmcnt(1)
	ds_bpermute_b32 v10, v15, v8
	ds_bpermute_b32 v11, v15, v9
	s_waitcnt lgkmcnt(2)
	ds_bpermute_b32 v22, v15, v21
	v_mov_b32_e32 v5, v21
	s_waitcnt lgkmcnt(1)
	v_cmp_ne_u64_e32 vcc, 0, v[10:11]
	s_and_saveexec_b64 s[12:13], vcc
	s_cbranch_execz .LBB18_39
; %bb.36:                               ;   in Loop: Header=BB18_4 Depth=1
	v_cmp_ne_u64_e32 vcc, 0, v[8:9]
	s_waitcnt lgkmcnt(0)
	v_cmp_ngt_f32_e64 s[10:11], v21, v22
	s_and_b64 s[10:11], vcc, s[10:11]
	s_and_saveexec_b64 s[14:15], s[10:11]
; %bb.37:                               ;   in Loop: Header=BB18_4 Depth=1
	v_cmp_lt_i64_e32 vcc, v[10:11], v[8:9]
	v_cmp_eq_f32_e64 s[10:11], v21, v22
	v_cndmask_b32_e32 v5, v9, v11, vcc
	s_and_b64 vcc, s[10:11], vcc
	v_cndmask_b32_e64 v11, v9, v5, s[10:11]
	v_cndmask_b32_e32 v10, v8, v10, vcc
	v_mov_b32_e32 v22, v21
; %bb.38:                               ;   in Loop: Header=BB18_4 Depth=1
	s_or_b64 exec, exec, s[14:15]
	v_mov_b32_e32 v8, v10
	v_mov_b32_e32 v21, v22
	;; [unrolled: 1-line block ×4, first 2 shown]
.LBB18_39:                              ;   in Loop: Header=BB18_4 Depth=1
	s_or_b64 exec, exec, s[12:13]
	ds_bpermute_b32 v10, v16, v8
	ds_bpermute_b32 v11, v16, v9
	s_waitcnt lgkmcnt(2)
	ds_bpermute_b32 v22, v16, v21
	s_waitcnt lgkmcnt(1)
	v_cmp_ne_u64_e32 vcc, 0, v[10:11]
	s_and_saveexec_b64 s[12:13], vcc
	s_cbranch_execz .LBB18_43
; %bb.40:                               ;   in Loop: Header=BB18_4 Depth=1
	v_cmp_ne_u64_e32 vcc, 0, v[8:9]
	s_waitcnt lgkmcnt(0)
	v_cmp_ngt_f32_e64 s[10:11], v5, v22
	s_and_b64 s[10:11], vcc, s[10:11]
	v_mov_b32_e32 v23, v22
	s_and_saveexec_b64 s[14:15], s[10:11]
; %bb.41:                               ;   in Loop: Header=BB18_4 Depth=1
	v_cmp_lt_i64_e32 vcc, v[10:11], v[8:9]
	v_cmp_eq_f32_e64 s[10:11], v5, v22
	v_cndmask_b32_e32 v11, v9, v11, vcc
	s_and_b64 vcc, s[10:11], vcc
	v_cndmask_b32_e64 v11, v9, v11, s[10:11]
	v_cndmask_b32_e32 v10, v8, v10, vcc
	v_mov_b32_e32 v23, v5
	v_mov_b32_e32 v22, v21
; %bb.42:                               ;   in Loop: Header=BB18_4 Depth=1
	s_or_b64 exec, exec, s[14:15]
	v_mov_b32_e32 v8, v10
	v_mov_b32_e32 v21, v22
	v_mov_b32_e32 v9, v11
	v_mov_b32_e32 v5, v23
.LBB18_43:                              ;   in Loop: Header=BB18_4 Depth=1
	s_or_b64 exec, exec, s[12:13]
	ds_bpermute_b32 v10, v17, v8
	ds_bpermute_b32 v11, v17, v9
	s_waitcnt lgkmcnt(2)
	ds_bpermute_b32 v22, v17, v21
	s_waitcnt lgkmcnt(1)
	v_cmp_ne_u64_e32 vcc, 0, v[10:11]
	s_and_saveexec_b64 s[12:13], vcc
	s_cbranch_execz .LBB18_47
; %bb.44:                               ;   in Loop: Header=BB18_4 Depth=1
	v_cmp_ne_u64_e32 vcc, 0, v[8:9]
	s_waitcnt lgkmcnt(0)
	v_cmp_ngt_f32_e64 s[10:11], v5, v22
	s_and_b64 s[10:11], vcc, s[10:11]
	v_mov_b32_e32 v23, v22
	s_and_saveexec_b64 s[14:15], s[10:11]
; %bb.45:                               ;   in Loop: Header=BB18_4 Depth=1
	v_cmp_lt_i64_e32 vcc, v[10:11], v[8:9]
	v_cmp_eq_f32_e64 s[10:11], v5, v22
	v_cndmask_b32_e32 v11, v9, v11, vcc
	s_and_b64 vcc, s[10:11], vcc
	v_cndmask_b32_e64 v11, v9, v11, s[10:11]
	v_cndmask_b32_e32 v10, v8, v10, vcc
	v_mov_b32_e32 v23, v5
	v_mov_b32_e32 v22, v21
; %bb.46:                               ;   in Loop: Header=BB18_4 Depth=1
	s_or_b64 exec, exec, s[14:15]
	v_mov_b32_e32 v8, v10
	v_mov_b32_e32 v21, v22
	;; [unrolled: 1-line block ×4, first 2 shown]
.LBB18_47:                              ;   in Loop: Header=BB18_4 Depth=1
	s_or_b64 exec, exec, s[12:13]
	ds_bpermute_b32 v10, v18, v8
	ds_bpermute_b32 v11, v18, v9
	;; [unrolled: 1-line block ×3, first 2 shown]
	s_waitcnt lgkmcnt(1)
	v_cmp_ne_u64_e32 vcc, 0, v[10:11]
	s_and_saveexec_b64 s[28:29], vcc
	s_cbranch_execz .LBB18_49
; %bb.48:                               ;   in Loop: Header=BB18_4 Depth=1
	v_cmp_eq_u64_e32 vcc, 0, v[8:9]
	v_cmp_lt_i64_e64 s[12:13], v[10:11], v[8:9]
	s_waitcnt lgkmcnt(0)
	v_cmp_gt_f32_e64 s[10:11], v5, v21
	v_cmp_eq_f32_e64 s[14:15], v5, v21
	s_and_b64 s[12:13], s[14:15], s[12:13]
	s_or_b64 vcc, vcc, s[10:11]
	v_cndmask_b32_e64 v9, v9, v11, s[12:13]
	s_or_b64 s[10:11], vcc, s[12:13]
	v_cndmask_b32_e32 v9, v9, v11, vcc
	v_cndmask_b32_e64 v8, v8, v10, s[10:11]
	v_cndmask_b32_e32 v5, v5, v21, vcc
.LBB18_49:                              ;   in Loop: Header=BB18_4 Depth=1
	s_or_b64 exec, exec, s[28:29]
	s_waitcnt lgkmcnt(0)
	v_mov_b32_e32 v21, v5
.LBB18_50:                              ;   in Loop: Header=BB18_4 Depth=1
	s_or_b64 exec, exec, s[26:27]
	s_waitcnt lgkmcnt(1)
	v_cmp_ne_u64_e32 vcc, 0, v[8:9]
	s_and_b64 s[10:11], s[22:23], vcc
	s_and_saveexec_b64 s[12:13], s[10:11]
	s_cbranch_execz .LBB18_3
; %bb.51:                               ;   in Loop: Header=BB18_4 Depth=1
	v_cmp_ne_u64_e32 vcc, 0, v[1:2]
	s_waitcnt lgkmcnt(0)
	v_cmp_nlt_f32_e64 s[10:11], v21, v3
	s_and_b64 s[10:11], vcc, s[10:11]
	v_mov_b32_e32 v5, v21
	s_and_saveexec_b64 s[14:15], s[10:11]
	s_cbranch_execz .LBB18_2
; %bb.52:                               ;   in Loop: Header=BB18_4 Depth=1
	v_cmp_lt_i64_e32 vcc, v[8:9], v[1:2]
	v_cmp_eq_f32_e64 s[10:11], v3, v21
	v_cndmask_b32_e32 v5, v2, v9, vcc
	s_and_b64 vcc, s[10:11], vcc
	v_cndmask_b32_e64 v9, v2, v5, s[10:11]
	v_cndmask_b32_e32 v8, v1, v8, vcc
	v_mov_b32_e32 v5, v3
	s_branch .LBB18_2
.LBB18_53:
	v_mov_b32_e32 v1, 0
	v_mov_b32_e32 v2, 0
.LBB18_54:
	s_mov_b32 s7, 0
	v_cmp_eq_u32_e32 vcc, 0, v0
	s_and_saveexec_b64 s[0:1], vcc
	s_cbranch_execz .LBB18_56
; %bb.55:
	s_load_dword s2, s[4:5], 0x30
	s_load_dwordx2 s[0:1], s[4:5], 0x28
	v_mov_b32_e32 v0, 0
	s_waitcnt lgkmcnt(0)
	s_mul_hi_u32 s3, s2, s24
	s_mul_i32 s2, s2, s24
	s_lshl_b64 s[2:3], s[2:3], 4
	s_add_u32 s2, s0, s2
	s_addc_u32 s3, s1, s3
	s_lshl_b64 s[0:1], s[6:7], 4
	s_add_u32 s0, s2, s0
	s_addc_u32 s1, s3, s1
	global_store_dwordx3 v0, v[1:3], s[0:1]
.LBB18_56:
	s_endpgm
	.section	.rodata,"a",@progbits
	.p2align	6, 0x0
	.amdhsa_kernel _ZL35rocblas_iamax_iamin_kernel_part1_64ILi1024E26rocblas_fetch_amax_amin_64IfE22rocblas_reduce_amin_64PKPK19rocblas_complex_numIfE24rocblas_index_64_value_tIfEEvlT2_lllPT3_
		.amdhsa_group_segment_fixed_size 1024
		.amdhsa_private_segment_fixed_size 0
		.amdhsa_kernarg_size 304
		.amdhsa_user_sgpr_count 6
		.amdhsa_user_sgpr_private_segment_buffer 1
		.amdhsa_user_sgpr_dispatch_ptr 0
		.amdhsa_user_sgpr_queue_ptr 0
		.amdhsa_user_sgpr_kernarg_segment_ptr 1
		.amdhsa_user_sgpr_dispatch_id 0
		.amdhsa_user_sgpr_flat_scratch_init 0
		.amdhsa_user_sgpr_private_segment_size 0
		.amdhsa_uses_dynamic_stack 0
		.amdhsa_system_sgpr_private_segment_wavefront_offset 0
		.amdhsa_system_sgpr_workgroup_id_x 1
		.amdhsa_system_sgpr_workgroup_id_y 0
		.amdhsa_system_sgpr_workgroup_id_z 1
		.amdhsa_system_sgpr_workgroup_info 0
		.amdhsa_system_vgpr_workitem_id 0
		.amdhsa_next_free_vgpr 24
		.amdhsa_next_free_sgpr 30
		.amdhsa_reserve_vcc 1
		.amdhsa_reserve_flat_scratch 0
		.amdhsa_float_round_mode_32 0
		.amdhsa_float_round_mode_16_64 0
		.amdhsa_float_denorm_mode_32 3
		.amdhsa_float_denorm_mode_16_64 3
		.amdhsa_dx10_clamp 1
		.amdhsa_ieee_mode 1
		.amdhsa_fp16_overflow 0
		.amdhsa_exception_fp_ieee_invalid_op 0
		.amdhsa_exception_fp_denorm_src 0
		.amdhsa_exception_fp_ieee_div_zero 0
		.amdhsa_exception_fp_ieee_overflow 0
		.amdhsa_exception_fp_ieee_underflow 0
		.amdhsa_exception_fp_ieee_inexact 0
		.amdhsa_exception_int_div_zero 0
	.end_amdhsa_kernel
	.section	.text._ZL35rocblas_iamax_iamin_kernel_part1_64ILi1024E26rocblas_fetch_amax_amin_64IfE22rocblas_reduce_amin_64PKPK19rocblas_complex_numIfE24rocblas_index_64_value_tIfEEvlT2_lllPT3_,"axG",@progbits,_ZL35rocblas_iamax_iamin_kernel_part1_64ILi1024E26rocblas_fetch_amax_amin_64IfE22rocblas_reduce_amin_64PKPK19rocblas_complex_numIfE24rocblas_index_64_value_tIfEEvlT2_lllPT3_,comdat
.Lfunc_end18:
	.size	_ZL35rocblas_iamax_iamin_kernel_part1_64ILi1024E26rocblas_fetch_amax_amin_64IfE22rocblas_reduce_amin_64PKPK19rocblas_complex_numIfE24rocblas_index_64_value_tIfEEvlT2_lllPT3_, .Lfunc_end18-_ZL35rocblas_iamax_iamin_kernel_part1_64ILi1024E26rocblas_fetch_amax_amin_64IfE22rocblas_reduce_amin_64PKPK19rocblas_complex_numIfE24rocblas_index_64_value_tIfEEvlT2_lllPT3_
                                        ; -- End function
	.set _ZL35rocblas_iamax_iamin_kernel_part1_64ILi1024E26rocblas_fetch_amax_amin_64IfE22rocblas_reduce_amin_64PKPK19rocblas_complex_numIfE24rocblas_index_64_value_tIfEEvlT2_lllPT3_.num_vgpr, 24
	.set _ZL35rocblas_iamax_iamin_kernel_part1_64ILi1024E26rocblas_fetch_amax_amin_64IfE22rocblas_reduce_amin_64PKPK19rocblas_complex_numIfE24rocblas_index_64_value_tIfEEvlT2_lllPT3_.num_agpr, 0
	.set _ZL35rocblas_iamax_iamin_kernel_part1_64ILi1024E26rocblas_fetch_amax_amin_64IfE22rocblas_reduce_amin_64PKPK19rocblas_complex_numIfE24rocblas_index_64_value_tIfEEvlT2_lllPT3_.numbered_sgpr, 30
	.set _ZL35rocblas_iamax_iamin_kernel_part1_64ILi1024E26rocblas_fetch_amax_amin_64IfE22rocblas_reduce_amin_64PKPK19rocblas_complex_numIfE24rocblas_index_64_value_tIfEEvlT2_lllPT3_.num_named_barrier, 0
	.set _ZL35rocblas_iamax_iamin_kernel_part1_64ILi1024E26rocblas_fetch_amax_amin_64IfE22rocblas_reduce_amin_64PKPK19rocblas_complex_numIfE24rocblas_index_64_value_tIfEEvlT2_lllPT3_.private_seg_size, 0
	.set _ZL35rocblas_iamax_iamin_kernel_part1_64ILi1024E26rocblas_fetch_amax_amin_64IfE22rocblas_reduce_amin_64PKPK19rocblas_complex_numIfE24rocblas_index_64_value_tIfEEvlT2_lllPT3_.uses_vcc, 1
	.set _ZL35rocblas_iamax_iamin_kernel_part1_64ILi1024E26rocblas_fetch_amax_amin_64IfE22rocblas_reduce_amin_64PKPK19rocblas_complex_numIfE24rocblas_index_64_value_tIfEEvlT2_lllPT3_.uses_flat_scratch, 0
	.set _ZL35rocblas_iamax_iamin_kernel_part1_64ILi1024E26rocblas_fetch_amax_amin_64IfE22rocblas_reduce_amin_64PKPK19rocblas_complex_numIfE24rocblas_index_64_value_tIfEEvlT2_lllPT3_.has_dyn_sized_stack, 0
	.set _ZL35rocblas_iamax_iamin_kernel_part1_64ILi1024E26rocblas_fetch_amax_amin_64IfE22rocblas_reduce_amin_64PKPK19rocblas_complex_numIfE24rocblas_index_64_value_tIfEEvlT2_lllPT3_.has_recursion, 0
	.set _ZL35rocblas_iamax_iamin_kernel_part1_64ILi1024E26rocblas_fetch_amax_amin_64IfE22rocblas_reduce_amin_64PKPK19rocblas_complex_numIfE24rocblas_index_64_value_tIfEEvlT2_lllPT3_.has_indirect_call, 0
	.section	.AMDGPU.csdata,"",@progbits
; Kernel info:
; codeLenInByte = 2124
; TotalNumSgprs: 34
; NumVgprs: 24
; ScratchSize: 0
; MemoryBound: 0
; FloatMode: 240
; IeeeMode: 1
; LDSByteSize: 1024 bytes/workgroup (compile time only)
; SGPRBlocks: 4
; VGPRBlocks: 5
; NumSGPRsForWavesPerEU: 34
; NumVGPRsForWavesPerEU: 24
; Occupancy: 10
; WaveLimiterHint : 0
; COMPUTE_PGM_RSRC2:SCRATCH_EN: 0
; COMPUTE_PGM_RSRC2:USER_SGPR: 6
; COMPUTE_PGM_RSRC2:TRAP_HANDLER: 0
; COMPUTE_PGM_RSRC2:TGID_X_EN: 1
; COMPUTE_PGM_RSRC2:TGID_Y_EN: 0
; COMPUTE_PGM_RSRC2:TGID_Z_EN: 1
; COMPUTE_PGM_RSRC2:TIDIG_COMP_CNT: 0
	.section	.text._ZL35rocblas_iamax_iamin_kernel_part1_64ILi1024E26rocblas_fetch_amax_amin_64IdE22rocblas_reduce_amin_64PKPK19rocblas_complex_numIdE24rocblas_index_64_value_tIdEEvlT2_lllPT3_,"axG",@progbits,_ZL35rocblas_iamax_iamin_kernel_part1_64ILi1024E26rocblas_fetch_amax_amin_64IdE22rocblas_reduce_amin_64PKPK19rocblas_complex_numIdE24rocblas_index_64_value_tIdEEvlT2_lllPT3_,comdat
	.globl	_ZL35rocblas_iamax_iamin_kernel_part1_64ILi1024E26rocblas_fetch_amax_amin_64IdE22rocblas_reduce_amin_64PKPK19rocblas_complex_numIdE24rocblas_index_64_value_tIdEEvlT2_lllPT3_ ; -- Begin function _ZL35rocblas_iamax_iamin_kernel_part1_64ILi1024E26rocblas_fetch_amax_amin_64IdE22rocblas_reduce_amin_64PKPK19rocblas_complex_numIdE24rocblas_index_64_value_tIdEEvlT2_lllPT3_
	.p2align	8
	.type	_ZL35rocblas_iamax_iamin_kernel_part1_64ILi1024E26rocblas_fetch_amax_amin_64IdE22rocblas_reduce_amin_64PKPK19rocblas_complex_numIdE24rocblas_index_64_value_tIdEEvlT2_lllPT3_,@function
_ZL35rocblas_iamax_iamin_kernel_part1_64ILi1024E26rocblas_fetch_amax_amin_64IdE22rocblas_reduce_amin_64PKPK19rocblas_complex_numIdE24rocblas_index_64_value_tIdEEvlT2_lllPT3_: ; @_ZL35rocblas_iamax_iamin_kernel_part1_64ILi1024E26rocblas_fetch_amax_amin_64IdE22rocblas_reduce_amin_64PKPK19rocblas_complex_numIdE24rocblas_index_64_value_tIdEEvlT2_lllPT3_
; %bb.0:
	s_load_dwordx8 s[16:23], s[4:5], 0x0
	s_mov_b32 s24, s7
	s_mov_b32 s25, 0
	s_waitcnt lgkmcnt(0)
	v_cmp_lt_i64_e64 s[0:1], s[16:17], 1
	s_and_b64 vcc, exec, s[0:1]
	s_cbranch_vccnz .LBB19_53
; %bb.1:
	v_mbcnt_lo_u32_b32 v2, -1, 0
	v_mbcnt_hi_u32_b32 v2, -1, v2
	v_and_b32_e32 v3, 63, v2
	v_mov_b32_e32 v4, 0x80
	v_cmp_gt_u32_e32 vcc, 48, v3
	v_lshl_or_b32 v22, v2, 2, v4
	v_cndmask_b32_e64 v4, 0, 16, vcc
	v_cmp_gt_u32_e32 vcc, 56, v3
	v_add_lshl_u32 v23, v4, v2, 2
	v_cndmask_b32_e64 v4, 0, 8, vcc
	v_cmp_gt_u32_e32 vcc, 60, v3
	v_add_lshl_u32 v24, v4, v2, 2
	;; [unrolled: 3-line block ×3, first 2 shown]
	v_cndmask_b32_e64 v4, 0, 2, vcc
	v_cmp_ne_u32_e32 vcc, 63, v3
	v_and_b32_e32 v1, 63, v0
	v_add_lshl_u32 v26, v4, v2, 2
	v_addc_co_u32_e32 v2, vcc, 0, v2, vcc
	v_lshl_or_b32 v28, s6, 10, v0
	s_lshl_b64 s[0:1], s[24:25], 3
	v_lshlrev_b32_e32 v21, 4, v1
	v_lshlrev_b32_e32 v27, 2, v2
	v_cmp_eq_u32_e64 s[2:3], 0, v1
	v_mad_u64_u32 v[1:2], s[8:9], s22, v28, 0
	s_add_u32 s0, s18, s0
	s_addc_u32 s1, s19, s1
	s_load_dword s7, s[4:5], 0x30
	s_load_dwordx2 s[10:11], s[0:1], 0x0
	v_lshrrev_b32_e32 v3, 2, v0
	v_and_b32_e32 v29, 0xf0, v3
	v_mad_u64_u32 v[2:3], s[12:13], s23, v28, v[2:3]
	s_waitcnt lgkmcnt(0)
	s_lshl_b32 s7, s7, 10
	s_lshl_b64 s[12:13], s[20:21], 4
	v_lshlrev_b64 v[1:2], 4, v[1:2]
	s_add_u32 s10, s10, s12
	s_addc_u32 s11, s11, s13
	v_mov_b32_e32 v3, s11
	v_add_co_u32_e64 v15, s[10:11], s10, v1
	v_addc_co_u32_e64 v16, s[10:11], v3, v2, s[10:11]
	s_mul_i32 s10, s23, s7
	s_mul_hi_u32 s11, s22, s7
	v_cmp_ne_u32_e32 vcc, 0, v0
	s_add_i32 s11, s11, s10
	s_mul_i32 s10, s22, s7
	v_mov_b32_e32 v1, 0
	v_cmp_gt_u32_e64 s[0:1], 64, v0
	v_cmp_gt_u32_e64 s[8:9], 16, v0
	v_mov_b32_e32 v5, 0
	s_lshl_b64 s[18:19], s[10:11], 4
	s_mov_b64 s[20:21], 0
	v_mov_b32_e32 v2, 0
	s_xor_b64 s[22:23], vcc, -1
                                        ; implicit-def: $vgpr9_vgpr10
	s_branch .LBB19_4
.LBB19_2:                               ;   in Loop: Header=BB19_4 Depth=1
	s_or_b64 exec, exec, s[14:15]
	v_mov_b32_e32 v1, v7
	v_mov_b32_e32 v3, v11
	;; [unrolled: 1-line block ×4, first 2 shown]
.LBB19_3:                               ;   in Loop: Header=BB19_4 Depth=1
	s_or_b64 exec, exec, s[12:13]
	s_add_u32 s20, s20, s7
	v_mov_b32_e32 v6, s16
	s_addc_u32 s21, s21, 0
	v_mov_b32_e32 v7, s17
	v_cmp_ge_i64_e32 vcc, s[20:21], v[6:7]
	v_mov_b32_e32 v8, s19
	v_add_co_u32_e64 v15, s[10:11], s18, v15
	v_addc_co_u32_e64 v16, s[10:11], v16, v8, s[10:11]
	s_cbranch_vccnz .LBB19_54
.LBB19_4:                               ; =>This Inner Loop Header: Depth=1
	v_mov_b32_e32 v7, s21
	v_add_co_u32_e32 v6, vcc, s20, v28
	v_addc_co_u32_e32 v7, vcc, 0, v7, vcc
	v_cmp_gt_i64_e32 vcc, s[16:17], v[6:7]
	v_mov_b32_e32 v11, 0
	v_mov_b32_e32 v12, 0
	s_and_saveexec_b64 s[10:11], vcc
	s_cbranch_execz .LBB19_6
; %bb.5:                                ;   in Loop: Header=BB19_4 Depth=1
	flat_load_dwordx4 v[8:11], v[15:16]
	s_waitcnt vmcnt(0) lgkmcnt(0)
	v_cmp_gt_f64_e32 vcc, 0, v[8:9]
	v_xor_b32_e32 v12, 0x80000000, v9
	v_xor_b32_e32 v13, 0x80000000, v11
	v_cndmask_b32_e32 v9, v9, v12, vcc
	v_cmp_gt_f64_e32 vcc, 0, v[10:11]
	v_cndmask_b32_e32 v11, v11, v13, vcc
	v_add_f64 v[9:10], v[8:9], v[10:11]
	v_add_co_u32_e32 v11, vcc, 1, v6
	v_addc_co_u32_e32 v12, vcc, 0, v7, vcc
.LBB19_6:                               ;   in Loop: Header=BB19_4 Depth=1
	s_or_b64 exec, exec, s[10:11]
	s_and_saveexec_b64 s[10:11], s[0:1]
; %bb.7:                                ;   in Loop: Header=BB19_4 Depth=1
	v_mov_b32_e32 v6, v5
	v_mov_b32_e32 v7, v5
	;; [unrolled: 1-line block ×3, first 2 shown]
	ds_write_b128 v21, v[5:8]
; %bb.8:                                ;   in Loop: Header=BB19_4 Depth=1
	s_or_b64 exec, exec, s[10:11]
	ds_bpermute_b32 v6, v22, v11
	ds_bpermute_b32 v7, v22, v12
	;; [unrolled: 1-line block ×4, first 2 shown]
	v_mov_b32_e32 v14, v10
	v_mov_b32_e32 v13, v9
	s_waitcnt lgkmcnt(2)
	v_cmp_ne_u64_e32 vcc, 0, v[6:7]
	s_waitcnt lgkmcnt(0)
	s_barrier
	s_and_saveexec_b64 s[12:13], vcc
	s_cbranch_execz .LBB19_12
; %bb.9:                                ;   in Loop: Header=BB19_4 Depth=1
	v_cmp_ngt_f64_e32 vcc, v[9:10], v[17:18]
	v_cmp_ne_u64_e64 s[10:11], 0, v[11:12]
	v_mov_b32_e32 v13, v17
	v_mov_b32_e32 v14, v18
	s_and_b64 s[10:11], s[10:11], vcc
	s_and_saveexec_b64 s[14:15], s[10:11]
	s_cbranch_execz .LBB19_11
; %bb.10:                               ;   in Loop: Header=BB19_4 Depth=1
	v_cmp_eq_f64_e64 s[10:11], v[9:10], v[17:18]
	v_cmp_lt_i64_e32 vcc, v[6:7], v[11:12]
	v_mov_b32_e32 v14, v10
	v_cndmask_b32_e32 v7, v12, v7, vcc
	v_mov_b32_e32 v13, v9
	v_mov_b32_e32 v17, v9
	;; [unrolled: 1-line block ×3, first 2 shown]
	s_and_b64 vcc, s[10:11], vcc
	v_cndmask_b32_e64 v7, v12, v7, s[10:11]
	v_cndmask_b32_e32 v6, v11, v6, vcc
.LBB19_11:                              ;   in Loop: Header=BB19_4 Depth=1
	s_or_b64 exec, exec, s[14:15]
	v_mov_b32_e32 v12, v7
	v_mov_b32_e32 v10, v18
	;; [unrolled: 1-line block ×4, first 2 shown]
.LBB19_12:                              ;   in Loop: Header=BB19_4 Depth=1
	s_or_b64 exec, exec, s[12:13]
	ds_bpermute_b32 v6, v23, v11
	ds_bpermute_b32 v7, v23, v12
	;; [unrolled: 1-line block ×4, first 2 shown]
	s_waitcnt lgkmcnt(2)
	v_cmp_ne_u64_e32 vcc, 0, v[6:7]
	s_and_saveexec_b64 s[12:13], vcc
	s_cbranch_execz .LBB19_16
; %bb.13:                               ;   in Loop: Header=BB19_4 Depth=1
	s_waitcnt lgkmcnt(0)
	v_cmp_ngt_f64_e32 vcc, v[13:14], v[17:18]
	v_cmp_ne_u64_e64 s[10:11], 0, v[11:12]
	v_mov_b32_e32 v20, v18
	v_mov_b32_e32 v19, v17
	s_and_b64 s[10:11], s[10:11], vcc
	s_and_saveexec_b64 s[14:15], s[10:11]
	s_cbranch_execz .LBB19_15
; %bb.14:                               ;   in Loop: Header=BB19_4 Depth=1
	v_cmp_eq_f64_e64 s[10:11], v[13:14], v[17:18]
	v_cmp_lt_i64_e32 vcc, v[6:7], v[11:12]
	v_mov_b32_e32 v20, v14
	v_cndmask_b32_e32 v7, v12, v7, vcc
	v_mov_b32_e32 v19, v13
	v_mov_b32_e32 v17, v9
	v_mov_b32_e32 v18, v10
	s_and_b64 vcc, s[10:11], vcc
	v_cndmask_b32_e64 v7, v12, v7, s[10:11]
	v_cndmask_b32_e32 v6, v11, v6, vcc
.LBB19_15:                              ;   in Loop: Header=BB19_4 Depth=1
	s_or_b64 exec, exec, s[14:15]
	v_mov_b32_e32 v12, v7
	v_mov_b32_e32 v13, v19
	v_mov_b32_e32 v10, v18
	v_mov_b32_e32 v9, v17
	v_mov_b32_e32 v11, v6
	v_mov_b32_e32 v14, v20
.LBB19_16:                              ;   in Loop: Header=BB19_4 Depth=1
	s_or_b64 exec, exec, s[12:13]
	ds_bpermute_b32 v6, v24, v11
	ds_bpermute_b32 v7, v24, v12
	s_waitcnt lgkmcnt(3)
	ds_bpermute_b32 v17, v24, v9
	s_waitcnt lgkmcnt(3)
	ds_bpermute_b32 v18, v24, v10
	s_waitcnt lgkmcnt(2)
	v_cmp_ne_u64_e32 vcc, 0, v[6:7]
	s_and_saveexec_b64 s[12:13], vcc
	s_cbranch_execz .LBB19_20
; %bb.17:                               ;   in Loop: Header=BB19_4 Depth=1
	s_waitcnt lgkmcnt(0)
	v_cmp_ngt_f64_e32 vcc, v[13:14], v[17:18]
	v_cmp_ne_u64_e64 s[10:11], 0, v[11:12]
	v_mov_b32_e32 v20, v18
	v_mov_b32_e32 v19, v17
	s_and_b64 s[10:11], s[10:11], vcc
	s_and_saveexec_b64 s[14:15], s[10:11]
	s_cbranch_execz .LBB19_19
; %bb.18:                               ;   in Loop: Header=BB19_4 Depth=1
	v_cmp_eq_f64_e64 s[10:11], v[13:14], v[17:18]
	v_cmp_lt_i64_e32 vcc, v[6:7], v[11:12]
	v_mov_b32_e32 v20, v14
	v_cndmask_b32_e32 v7, v12, v7, vcc
	v_mov_b32_e32 v19, v13
	v_mov_b32_e32 v17, v9
	v_mov_b32_e32 v18, v10
	s_and_b64 vcc, s[10:11], vcc
	v_cndmask_b32_e64 v7, v12, v7, s[10:11]
	v_cndmask_b32_e32 v6, v11, v6, vcc
.LBB19_19:                              ;   in Loop: Header=BB19_4 Depth=1
	s_or_b64 exec, exec, s[14:15]
	v_mov_b32_e32 v12, v7
	v_mov_b32_e32 v13, v19
	v_mov_b32_e32 v10, v18
	v_mov_b32_e32 v9, v17
	v_mov_b32_e32 v11, v6
	v_mov_b32_e32 v14, v20
.LBB19_20:                              ;   in Loop: Header=BB19_4 Depth=1
	s_or_b64 exec, exec, s[12:13]
	ds_bpermute_b32 v6, v25, v11
	ds_bpermute_b32 v7, v25, v12
	s_waitcnt lgkmcnt(3)
	ds_bpermute_b32 v17, v25, v9
	s_waitcnt lgkmcnt(3)
	ds_bpermute_b32 v18, v25, v10
	;; [unrolled: 40-line block ×3, first 2 shown]
	s_waitcnt lgkmcnt(2)
	v_cmp_ne_u64_e32 vcc, 0, v[6:7]
	s_and_saveexec_b64 s[12:13], vcc
	s_cbranch_execz .LBB19_28
; %bb.25:                               ;   in Loop: Header=BB19_4 Depth=1
	s_waitcnt lgkmcnt(0)
	v_cmp_ngt_f64_e32 vcc, v[13:14], v[17:18]
	v_cmp_ne_u64_e64 s[10:11], 0, v[11:12]
	v_mov_b32_e32 v20, v18
	v_mov_b32_e32 v19, v17
	s_and_b64 s[10:11], s[10:11], vcc
	s_and_saveexec_b64 s[14:15], s[10:11]
	s_cbranch_execz .LBB19_27
; %bb.26:                               ;   in Loop: Header=BB19_4 Depth=1
	v_cmp_eq_f64_e64 s[10:11], v[13:14], v[17:18]
	v_cmp_lt_i64_e32 vcc, v[6:7], v[11:12]
	v_mov_b32_e32 v20, v14
	v_cndmask_b32_e32 v7, v12, v7, vcc
	v_mov_b32_e32 v19, v13
	v_mov_b32_e32 v17, v9
	;; [unrolled: 1-line block ×3, first 2 shown]
	s_and_b64 vcc, s[10:11], vcc
	v_cndmask_b32_e64 v7, v12, v7, s[10:11]
	v_cndmask_b32_e32 v6, v11, v6, vcc
.LBB19_27:                              ;   in Loop: Header=BB19_4 Depth=1
	s_or_b64 exec, exec, s[14:15]
	v_mov_b32_e32 v12, v7
	v_mov_b32_e32 v13, v19
	;; [unrolled: 1-line block ×6, first 2 shown]
.LBB19_28:                              ;   in Loop: Header=BB19_4 Depth=1
	s_or_b64 exec, exec, s[12:13]
	ds_bpermute_b32 v6, v27, v11
	ds_bpermute_b32 v7, v27, v12
	;; [unrolled: 1-line block ×4, first 2 shown]
	s_waitcnt lgkmcnt(2)
	v_cmp_ne_u64_e32 vcc, 0, v[6:7]
	s_and_saveexec_b64 s[26:27], vcc
	s_cbranch_execz .LBB19_30
; %bb.29:                               ;   in Loop: Header=BB19_4 Depth=1
	s_waitcnt lgkmcnt(0)
	v_mov_b32_e32 v9, v10
	v_cmp_eq_f64_e32 vcc, v[13:14], v[8:9]
	v_cmp_gt_f64_e64 s[10:11], v[13:14], v[8:9]
	v_cmp_lt_i64_e64 s[12:13], v[6:7], v[11:12]
	v_cmp_eq_u64_e64 s[14:15], 0, v[11:12]
	s_and_b64 s[12:13], vcc, s[12:13]
	s_or_b64 vcc, s[14:15], s[10:11]
	s_or_b64 s[10:11], vcc, s[12:13]
	v_cndmask_b32_e32 v14, v14, v10, vcc
	v_cndmask_b32_e64 v12, v12, v7, s[10:11]
	v_cndmask_b32_e64 v11, v11, v6, s[10:11]
	v_cndmask_b32_e32 v13, v13, v8, vcc
.LBB19_30:                              ;   in Loop: Header=BB19_4 Depth=1
	s_or_b64 exec, exec, s[26:27]
	s_and_saveexec_b64 s[10:11], s[2:3]
; %bb.31:                               ;   in Loop: Header=BB19_4 Depth=1
	ds_write_b128 v29, v[11:14]
; %bb.32:                               ;   in Loop: Header=BB19_4 Depth=1
	s_or_b64 exec, exec, s[10:11]
	s_waitcnt lgkmcnt(0)
	v_mov_b32_e32 v9, 0
	v_mov_b32_e32 v7, 0
	v_mov_b32_e32 v10, 0
	v_mov_b32_e32 v8, 0
	s_barrier
	s_and_saveexec_b64 s[10:11], s[8:9]
; %bb.33:                               ;   in Loop: Header=BB19_4 Depth=1
	ds_read_b128 v[7:10], v21
; %bb.34:                               ;   in Loop: Header=BB19_4 Depth=1
	s_or_b64 exec, exec, s[10:11]
	s_and_saveexec_b64 s[26:27], s[0:1]
	s_cbranch_execz .LBB19_50
; %bb.35:                               ;   in Loop: Header=BB19_4 Depth=1
	s_waitcnt lgkmcnt(0)
	ds_bpermute_b32 v13, v24, v7
	ds_bpermute_b32 v14, v24, v8
	;; [unrolled: 1-line block ×4, first 2 shown]
	v_mov_b32_e32 v12, v10
	v_mov_b32_e32 v11, v9
	s_waitcnt lgkmcnt(2)
	v_cmp_ne_u64_e32 vcc, 0, v[13:14]
	s_and_saveexec_b64 s[12:13], vcc
	s_cbranch_execz .LBB19_39
; %bb.36:                               ;   in Loop: Header=BB19_4 Depth=1
	s_waitcnt lgkmcnt(0)
	v_cmp_ngt_f64_e32 vcc, v[9:10], v[17:18]
	v_cmp_ne_u64_e64 s[10:11], 0, v[7:8]
	v_mov_b32_e32 v11, v17
	v_mov_b32_e32 v12, v18
	s_and_b64 s[10:11], s[10:11], vcc
	s_and_saveexec_b64 s[14:15], s[10:11]
	s_cbranch_execz .LBB19_38
; %bb.37:                               ;   in Loop: Header=BB19_4 Depth=1
	v_cmp_eq_f64_e64 s[10:11], v[9:10], v[17:18]
	v_cmp_lt_i64_e32 vcc, v[13:14], v[7:8]
	v_mov_b32_e32 v12, v10
	v_cndmask_b32_e32 v6, v8, v14, vcc
	v_mov_b32_e32 v11, v9
	v_mov_b32_e32 v17, v9
	;; [unrolled: 1-line block ×3, first 2 shown]
	s_and_b64 vcc, s[10:11], vcc
	v_cndmask_b32_e64 v14, v8, v6, s[10:11]
	v_cndmask_b32_e32 v13, v7, v13, vcc
.LBB19_38:                              ;   in Loop: Header=BB19_4 Depth=1
	s_or_b64 exec, exec, s[14:15]
	v_mov_b32_e32 v7, v13
	v_mov_b32_e32 v10, v18
	;; [unrolled: 1-line block ×4, first 2 shown]
.LBB19_39:                              ;   in Loop: Header=BB19_4 Depth=1
	s_or_b64 exec, exec, s[12:13]
	ds_bpermute_b32 v13, v25, v7
	ds_bpermute_b32 v14, v25, v8
	s_waitcnt lgkmcnt(3)
	ds_bpermute_b32 v17, v25, v9
	s_waitcnt lgkmcnt(3)
	;; [unrolled: 2-line block ×3, first 2 shown]
	v_cmp_ne_u64_e32 vcc, 0, v[13:14]
	s_and_saveexec_b64 s[12:13], vcc
	s_cbranch_execz .LBB19_43
; %bb.40:                               ;   in Loop: Header=BB19_4 Depth=1
	s_waitcnt lgkmcnt(0)
	v_cmp_ngt_f64_e32 vcc, v[11:12], v[17:18]
	v_cmp_ne_u64_e64 s[10:11], 0, v[7:8]
	v_mov_b32_e32 v20, v18
	v_mov_b32_e32 v19, v17
	s_and_b64 s[10:11], s[10:11], vcc
	s_and_saveexec_b64 s[14:15], s[10:11]
	s_cbranch_execz .LBB19_42
; %bb.41:                               ;   in Loop: Header=BB19_4 Depth=1
	v_cmp_eq_f64_e64 s[10:11], v[11:12], v[17:18]
	v_cmp_lt_i64_e32 vcc, v[13:14], v[7:8]
	v_mov_b32_e32 v20, v12
	v_cndmask_b32_e32 v6, v8, v14, vcc
	v_mov_b32_e32 v19, v11
	v_mov_b32_e32 v17, v9
	;; [unrolled: 1-line block ×3, first 2 shown]
	s_and_b64 vcc, s[10:11], vcc
	v_cndmask_b32_e64 v14, v8, v6, s[10:11]
	v_cndmask_b32_e32 v13, v7, v13, vcc
.LBB19_42:                              ;   in Loop: Header=BB19_4 Depth=1
	s_or_b64 exec, exec, s[14:15]
	v_mov_b32_e32 v7, v13
	v_mov_b32_e32 v11, v19
	;; [unrolled: 1-line block ×6, first 2 shown]
.LBB19_43:                              ;   in Loop: Header=BB19_4 Depth=1
	s_or_b64 exec, exec, s[12:13]
	ds_bpermute_b32 v13, v26, v7
	ds_bpermute_b32 v14, v26, v8
	s_waitcnt lgkmcnt(3)
	ds_bpermute_b32 v17, v26, v9
	s_waitcnt lgkmcnt(3)
	;; [unrolled: 2-line block ×3, first 2 shown]
	v_cmp_ne_u64_e32 vcc, 0, v[13:14]
	s_and_saveexec_b64 s[12:13], vcc
	s_cbranch_execz .LBB19_47
; %bb.44:                               ;   in Loop: Header=BB19_4 Depth=1
	s_waitcnt lgkmcnt(0)
	v_cmp_ngt_f64_e32 vcc, v[11:12], v[17:18]
	v_cmp_ne_u64_e64 s[10:11], 0, v[7:8]
	v_mov_b32_e32 v20, v18
	v_mov_b32_e32 v19, v17
	s_and_b64 s[10:11], s[10:11], vcc
	s_and_saveexec_b64 s[14:15], s[10:11]
	s_cbranch_execz .LBB19_46
; %bb.45:                               ;   in Loop: Header=BB19_4 Depth=1
	v_cmp_eq_f64_e64 s[10:11], v[11:12], v[17:18]
	v_cmp_lt_i64_e32 vcc, v[13:14], v[7:8]
	v_mov_b32_e32 v20, v12
	v_cndmask_b32_e32 v6, v8, v14, vcc
	v_mov_b32_e32 v19, v11
	v_mov_b32_e32 v17, v9
	;; [unrolled: 1-line block ×3, first 2 shown]
	s_and_b64 vcc, s[10:11], vcc
	v_cndmask_b32_e64 v14, v8, v6, s[10:11]
	v_cndmask_b32_e32 v13, v7, v13, vcc
.LBB19_46:                              ;   in Loop: Header=BB19_4 Depth=1
	s_or_b64 exec, exec, s[14:15]
	v_mov_b32_e32 v7, v13
	v_mov_b32_e32 v11, v19
	;; [unrolled: 1-line block ×6, first 2 shown]
.LBB19_47:                              ;   in Loop: Header=BB19_4 Depth=1
	s_or_b64 exec, exec, s[12:13]
	ds_bpermute_b32 v13, v27, v7
	ds_bpermute_b32 v14, v27, v8
	;; [unrolled: 1-line block ×4, first 2 shown]
	s_waitcnt lgkmcnt(2)
	v_cmp_ne_u64_e32 vcc, 0, v[13:14]
	s_and_saveexec_b64 s[28:29], vcc
	s_cbranch_execz .LBB19_49
; %bb.48:                               ;   in Loop: Header=BB19_4 Depth=1
	s_waitcnt lgkmcnt(0)
	v_mov_b32_e32 v10, v6
	v_cmp_eq_f64_e32 vcc, v[11:12], v[9:10]
	v_cmp_gt_f64_e64 s[10:11], v[11:12], v[9:10]
	v_cmp_lt_i64_e64 s[12:13], v[13:14], v[7:8]
	v_cmp_eq_u64_e64 s[14:15], 0, v[7:8]
	s_and_b64 s[12:13], vcc, s[12:13]
	s_or_b64 vcc, s[14:15], s[10:11]
	s_or_b64 s[10:11], vcc, s[12:13]
	v_cndmask_b32_e32 v12, v12, v6, vcc
	v_cndmask_b32_e64 v8, v8, v14, s[10:11]
	v_cndmask_b32_e64 v7, v7, v13, s[10:11]
	v_cndmask_b32_e32 v11, v11, v9, vcc
.LBB19_49:                              ;   in Loop: Header=BB19_4 Depth=1
	s_or_b64 exec, exec, s[28:29]
	s_waitcnt lgkmcnt(1)
	v_mov_b32_e32 v9, v11
	v_mov_b32_e32 v10, v12
.LBB19_50:                              ;   in Loop: Header=BB19_4 Depth=1
	s_or_b64 exec, exec, s[26:27]
	s_waitcnt lgkmcnt(0)
	v_cmp_ne_u64_e32 vcc, 0, v[7:8]
	s_and_b64 s[10:11], s[22:23], vcc
	s_and_saveexec_b64 s[12:13], s[10:11]
	s_cbranch_execz .LBB19_3
; %bb.51:                               ;   in Loop: Header=BB19_4 Depth=1
	v_cmp_nlt_f64_e32 vcc, v[9:10], v[3:4]
	v_cmp_ne_u64_e64 s[10:11], 0, v[1:2]
	v_mov_b32_e32 v12, v10
	v_mov_b32_e32 v11, v9
	s_and_b64 s[10:11], s[10:11], vcc
	s_and_saveexec_b64 s[14:15], s[10:11]
	s_cbranch_execz .LBB19_2
; %bb.52:                               ;   in Loop: Header=BB19_4 Depth=1
	v_cmp_eq_f64_e64 s[10:11], v[3:4], v[9:10]
	v_cmp_lt_i64_e32 vcc, v[7:8], v[1:2]
	v_mov_b32_e32 v12, v4
	v_cndmask_b32_e32 v6, v2, v8, vcc
	v_mov_b32_e32 v11, v3
	s_and_b64 vcc, s[10:11], vcc
	v_cndmask_b32_e64 v8, v2, v6, s[10:11]
	v_cndmask_b32_e32 v7, v1, v7, vcc
	s_branch .LBB19_2
.LBB19_53:
	v_mov_b32_e32 v1, 0
	v_mov_b32_e32 v2, 0
.LBB19_54:
	s_mov_b32 s7, 0
	v_cmp_eq_u32_e32 vcc, 0, v0
	s_and_saveexec_b64 s[0:1], vcc
	s_cbranch_execz .LBB19_56
; %bb.55:
	s_load_dword s2, s[4:5], 0x30
	s_load_dwordx2 s[0:1], s[4:5], 0x28
	v_mov_b32_e32 v0, 0
	s_waitcnt lgkmcnt(0)
	s_mul_hi_u32 s3, s2, s24
	s_mul_i32 s2, s2, s24
	s_lshl_b64 s[2:3], s[2:3], 4
	s_add_u32 s2, s0, s2
	s_addc_u32 s3, s1, s3
	s_lshl_b64 s[0:1], s[6:7], 4
	s_add_u32 s0, s2, s0
	s_addc_u32 s1, s3, s1
	global_store_dwordx4 v0, v[1:4], s[0:1]
.LBB19_56:
	s_endpgm
	.section	.rodata,"a",@progbits
	.p2align	6, 0x0
	.amdhsa_kernel _ZL35rocblas_iamax_iamin_kernel_part1_64ILi1024E26rocblas_fetch_amax_amin_64IdE22rocblas_reduce_amin_64PKPK19rocblas_complex_numIdE24rocblas_index_64_value_tIdEEvlT2_lllPT3_
		.amdhsa_group_segment_fixed_size 1024
		.amdhsa_private_segment_fixed_size 0
		.amdhsa_kernarg_size 304
		.amdhsa_user_sgpr_count 6
		.amdhsa_user_sgpr_private_segment_buffer 1
		.amdhsa_user_sgpr_dispatch_ptr 0
		.amdhsa_user_sgpr_queue_ptr 0
		.amdhsa_user_sgpr_kernarg_segment_ptr 1
		.amdhsa_user_sgpr_dispatch_id 0
		.amdhsa_user_sgpr_flat_scratch_init 0
		.amdhsa_user_sgpr_private_segment_size 0
		.amdhsa_uses_dynamic_stack 0
		.amdhsa_system_sgpr_private_segment_wavefront_offset 0
		.amdhsa_system_sgpr_workgroup_id_x 1
		.amdhsa_system_sgpr_workgroup_id_y 0
		.amdhsa_system_sgpr_workgroup_id_z 1
		.amdhsa_system_sgpr_workgroup_info 0
		.amdhsa_system_vgpr_workitem_id 0
		.amdhsa_next_free_vgpr 30
		.amdhsa_next_free_sgpr 30
		.amdhsa_reserve_vcc 1
		.amdhsa_reserve_flat_scratch 0
		.amdhsa_float_round_mode_32 0
		.amdhsa_float_round_mode_16_64 0
		.amdhsa_float_denorm_mode_32 3
		.amdhsa_float_denorm_mode_16_64 3
		.amdhsa_dx10_clamp 1
		.amdhsa_ieee_mode 1
		.amdhsa_fp16_overflow 0
		.amdhsa_exception_fp_ieee_invalid_op 0
		.amdhsa_exception_fp_denorm_src 0
		.amdhsa_exception_fp_ieee_div_zero 0
		.amdhsa_exception_fp_ieee_overflow 0
		.amdhsa_exception_fp_ieee_underflow 0
		.amdhsa_exception_fp_ieee_inexact 0
		.amdhsa_exception_int_div_zero 0
	.end_amdhsa_kernel
	.section	.text._ZL35rocblas_iamax_iamin_kernel_part1_64ILi1024E26rocblas_fetch_amax_amin_64IdE22rocblas_reduce_amin_64PKPK19rocblas_complex_numIdE24rocblas_index_64_value_tIdEEvlT2_lllPT3_,"axG",@progbits,_ZL35rocblas_iamax_iamin_kernel_part1_64ILi1024E26rocblas_fetch_amax_amin_64IdE22rocblas_reduce_amin_64PKPK19rocblas_complex_numIdE24rocblas_index_64_value_tIdEEvlT2_lllPT3_,comdat
.Lfunc_end19:
	.size	_ZL35rocblas_iamax_iamin_kernel_part1_64ILi1024E26rocblas_fetch_amax_amin_64IdE22rocblas_reduce_amin_64PKPK19rocblas_complex_numIdE24rocblas_index_64_value_tIdEEvlT2_lllPT3_, .Lfunc_end19-_ZL35rocblas_iamax_iamin_kernel_part1_64ILi1024E26rocblas_fetch_amax_amin_64IdE22rocblas_reduce_amin_64PKPK19rocblas_complex_numIdE24rocblas_index_64_value_tIdEEvlT2_lllPT3_
                                        ; -- End function
	.set _ZL35rocblas_iamax_iamin_kernel_part1_64ILi1024E26rocblas_fetch_amax_amin_64IdE22rocblas_reduce_amin_64PKPK19rocblas_complex_numIdE24rocblas_index_64_value_tIdEEvlT2_lllPT3_.num_vgpr, 30
	.set _ZL35rocblas_iamax_iamin_kernel_part1_64ILi1024E26rocblas_fetch_amax_amin_64IdE22rocblas_reduce_amin_64PKPK19rocblas_complex_numIdE24rocblas_index_64_value_tIdEEvlT2_lllPT3_.num_agpr, 0
	.set _ZL35rocblas_iamax_iamin_kernel_part1_64ILi1024E26rocblas_fetch_amax_amin_64IdE22rocblas_reduce_amin_64PKPK19rocblas_complex_numIdE24rocblas_index_64_value_tIdEEvlT2_lllPT3_.numbered_sgpr, 30
	.set _ZL35rocblas_iamax_iamin_kernel_part1_64ILi1024E26rocblas_fetch_amax_amin_64IdE22rocblas_reduce_amin_64PKPK19rocblas_complex_numIdE24rocblas_index_64_value_tIdEEvlT2_lllPT3_.num_named_barrier, 0
	.set _ZL35rocblas_iamax_iamin_kernel_part1_64ILi1024E26rocblas_fetch_amax_amin_64IdE22rocblas_reduce_amin_64PKPK19rocblas_complex_numIdE24rocblas_index_64_value_tIdEEvlT2_lllPT3_.private_seg_size, 0
	.set _ZL35rocblas_iamax_iamin_kernel_part1_64ILi1024E26rocblas_fetch_amax_amin_64IdE22rocblas_reduce_amin_64PKPK19rocblas_complex_numIdE24rocblas_index_64_value_tIdEEvlT2_lllPT3_.uses_vcc, 1
	.set _ZL35rocblas_iamax_iamin_kernel_part1_64ILi1024E26rocblas_fetch_amax_amin_64IdE22rocblas_reduce_amin_64PKPK19rocblas_complex_numIdE24rocblas_index_64_value_tIdEEvlT2_lllPT3_.uses_flat_scratch, 0
	.set _ZL35rocblas_iamax_iamin_kernel_part1_64ILi1024E26rocblas_fetch_amax_amin_64IdE22rocblas_reduce_amin_64PKPK19rocblas_complex_numIdE24rocblas_index_64_value_tIdEEvlT2_lllPT3_.has_dyn_sized_stack, 0
	.set _ZL35rocblas_iamax_iamin_kernel_part1_64ILi1024E26rocblas_fetch_amax_amin_64IdE22rocblas_reduce_amin_64PKPK19rocblas_complex_numIdE24rocblas_index_64_value_tIdEEvlT2_lllPT3_.has_recursion, 0
	.set _ZL35rocblas_iamax_iamin_kernel_part1_64ILi1024E26rocblas_fetch_amax_amin_64IdE22rocblas_reduce_amin_64PKPK19rocblas_complex_numIdE24rocblas_index_64_value_tIdEEvlT2_lllPT3_.has_indirect_call, 0
	.section	.AMDGPU.csdata,"",@progbits
; Kernel info:
; codeLenInByte = 2424
; TotalNumSgprs: 34
; NumVgprs: 30
; ScratchSize: 0
; MemoryBound: 0
; FloatMode: 240
; IeeeMode: 1
; LDSByteSize: 1024 bytes/workgroup (compile time only)
; SGPRBlocks: 4
; VGPRBlocks: 7
; NumSGPRsForWavesPerEU: 34
; NumVGPRsForWavesPerEU: 30
; Occupancy: 8
; WaveLimiterHint : 0
; COMPUTE_PGM_RSRC2:SCRATCH_EN: 0
; COMPUTE_PGM_RSRC2:USER_SGPR: 6
; COMPUTE_PGM_RSRC2:TRAP_HANDLER: 0
; COMPUTE_PGM_RSRC2:TGID_X_EN: 1
; COMPUTE_PGM_RSRC2:TGID_Y_EN: 0
; COMPUTE_PGM_RSRC2:TGID_Z_EN: 1
; COMPUTE_PGM_RSRC2:TIDIG_COMP_CNT: 0
	.section	.AMDGPU.gpr_maximums,"",@progbits
	.set amdgpu.max_num_vgpr, 0
	.set amdgpu.max_num_agpr, 0
	.set amdgpu.max_num_sgpr, 0
	.section	.AMDGPU.csdata,"",@progbits
	.type	__hip_cuid_6bde68b7cba20fd5,@object ; @__hip_cuid_6bde68b7cba20fd5
	.section	.bss,"aw",@nobits
	.globl	__hip_cuid_6bde68b7cba20fd5
__hip_cuid_6bde68b7cba20fd5:
	.byte	0                               ; 0x0
	.size	__hip_cuid_6bde68b7cba20fd5, 1

	.ident	"AMD clang version 22.0.0git (https://github.com/RadeonOpenCompute/llvm-project roc-7.2.4 26084 f58b06dce1f9c15707c5f808fd002e18c2accf7e)"
	.section	".note.GNU-stack","",@progbits
	.addrsig
	.addrsig_sym __hip_cuid_6bde68b7cba20fd5
	.amdgpu_metadata
---
amdhsa.kernels:
  - .args:
      - .offset:         0
        .size:           8
        .value_kind:     by_value
      - .address_space:  global
        .offset:         8
        .size:           8
        .value_kind:     global_buffer
      - .offset:         16
        .size:           8
        .value_kind:     by_value
      - .offset:         24
        .size:           8
        .value_kind:     by_value
      - .offset:         32
        .size:           8
        .value_kind:     by_value
      - .address_space:  global
        .offset:         40
        .size:           8
        .value_kind:     global_buffer
      - .offset:         48
        .size:           4
        .value_kind:     hidden_block_count_x
      - .offset:         52
        .size:           4
        .value_kind:     hidden_block_count_y
      - .offset:         56
        .size:           4
        .value_kind:     hidden_block_count_z
      - .offset:         60
        .size:           2
        .value_kind:     hidden_group_size_x
      - .offset:         62
        .size:           2
        .value_kind:     hidden_group_size_y
      - .offset:         64
        .size:           2
        .value_kind:     hidden_group_size_z
      - .offset:         66
        .size:           2
        .value_kind:     hidden_remainder_x
      - .offset:         68
        .size:           2
        .value_kind:     hidden_remainder_y
      - .offset:         70
        .size:           2
        .value_kind:     hidden_remainder_z
      - .offset:         88
        .size:           8
        .value_kind:     hidden_global_offset_x
      - .offset:         96
        .size:           8
        .value_kind:     hidden_global_offset_y
      - .offset:         104
        .size:           8
        .value_kind:     hidden_global_offset_z
      - .offset:         112
        .size:           2
        .value_kind:     hidden_grid_dims
    .group_segment_fixed_size: 1024
    .kernarg_segment_align: 8
    .kernarg_segment_size: 304
    .language:       OpenCL C
    .language_version:
      - 2
      - 0
    .max_flat_workgroup_size: 1024
    .name:           _ZL35rocblas_iamax_iamin_kernel_part1_64ILi1024E26rocblas_fetch_amax_amin_64IfE22rocblas_reduce_amax_64PKf24rocblas_index_64_value_tIfEEvlT2_lllPT3_
    .private_segment_fixed_size: 0
    .sgpr_count:     36
    .sgpr_spill_count: 0
    .symbol:         _ZL35rocblas_iamax_iamin_kernel_part1_64ILi1024E26rocblas_fetch_amax_amin_64IfE22rocblas_reduce_amax_64PKf24rocblas_index_64_value_tIfEEvlT2_lllPT3_.kd
    .uniform_work_group_size: 1
    .uses_dynamic_stack: false
    .vgpr_count:     24
    .vgpr_spill_count: 0
    .wavefront_size: 64
  - .args:
      - .offset:         0
        .size:           4
        .value_kind:     by_value
      - .address_space:  global
        .offset:         8
        .size:           8
        .value_kind:     global_buffer
      - .address_space:  global
        .offset:         16
        .size:           8
        .value_kind:     global_buffer
    .group_segment_fixed_size: 1024
    .kernarg_segment_align: 8
    .kernarg_segment_size: 24
    .language:       OpenCL C
    .language_version:
      - 2
      - 0
    .max_flat_workgroup_size: 1024
    .name:           _ZL35rocblas_iamax_iamin_kernel_part2_64ILi1024E22rocblas_reduce_amax_6424rocblas_index_64_value_tIfElEviPT1_PT2_
    .private_segment_fixed_size: 0
    .sgpr_count:     20
    .sgpr_spill_count: 0
    .symbol:         _ZL35rocblas_iamax_iamin_kernel_part2_64ILi1024E22rocblas_reduce_amax_6424rocblas_index_64_value_tIfElEviPT1_PT2_.kd
    .uniform_work_group_size: 1
    .uses_dynamic_stack: false
    .vgpr_count:     16
    .vgpr_spill_count: 0
    .wavefront_size: 64
  - .args:
      - .offset:         0
        .size:           8
        .value_kind:     by_value
      - .address_space:  global
        .offset:         8
        .size:           8
        .value_kind:     global_buffer
      - .offset:         16
        .size:           8
        .value_kind:     by_value
      - .offset:         24
        .size:           8
        .value_kind:     by_value
      - .offset:         32
        .size:           8
        .value_kind:     by_value
      - .address_space:  global
        .offset:         40
        .size:           8
        .value_kind:     global_buffer
      - .offset:         48
        .size:           4
        .value_kind:     hidden_block_count_x
      - .offset:         52
        .size:           4
        .value_kind:     hidden_block_count_y
      - .offset:         56
        .size:           4
        .value_kind:     hidden_block_count_z
      - .offset:         60
        .size:           2
        .value_kind:     hidden_group_size_x
      - .offset:         62
        .size:           2
        .value_kind:     hidden_group_size_y
      - .offset:         64
        .size:           2
        .value_kind:     hidden_group_size_z
      - .offset:         66
        .size:           2
        .value_kind:     hidden_remainder_x
      - .offset:         68
        .size:           2
        .value_kind:     hidden_remainder_y
      - .offset:         70
        .size:           2
        .value_kind:     hidden_remainder_z
      - .offset:         88
        .size:           8
        .value_kind:     hidden_global_offset_x
      - .offset:         96
        .size:           8
        .value_kind:     hidden_global_offset_y
      - .offset:         104
        .size:           8
        .value_kind:     hidden_global_offset_z
      - .offset:         112
        .size:           2
        .value_kind:     hidden_grid_dims
    .group_segment_fixed_size: 1024
    .kernarg_segment_align: 8
    .kernarg_segment_size: 304
    .language:       OpenCL C
    .language_version:
      - 2
      - 0
    .max_flat_workgroup_size: 1024
    .name:           _ZL35rocblas_iamax_iamin_kernel_part1_64ILi1024E26rocblas_fetch_amax_amin_64IdE22rocblas_reduce_amax_64PKd24rocblas_index_64_value_tIdEEvlT2_lllPT3_
    .private_segment_fixed_size: 0
    .sgpr_count:     36
    .sgpr_spill_count: 0
    .symbol:         _ZL35rocblas_iamax_iamin_kernel_part1_64ILi1024E26rocblas_fetch_amax_amin_64IdE22rocblas_reduce_amax_64PKd24rocblas_index_64_value_tIdEEvlT2_lllPT3_.kd
    .uniform_work_group_size: 1
    .uses_dynamic_stack: false
    .vgpr_count:     30
    .vgpr_spill_count: 0
    .wavefront_size: 64
  - .args:
      - .offset:         0
        .size:           4
        .value_kind:     by_value
      - .address_space:  global
        .offset:         8
        .size:           8
        .value_kind:     global_buffer
      - .address_space:  global
        .offset:         16
        .size:           8
        .value_kind:     global_buffer
    .group_segment_fixed_size: 1024
    .kernarg_segment_align: 8
    .kernarg_segment_size: 24
    .language:       OpenCL C
    .language_version:
      - 2
      - 0
    .max_flat_workgroup_size: 1024
    .name:           _ZL35rocblas_iamax_iamin_kernel_part2_64ILi1024E22rocblas_reduce_amax_6424rocblas_index_64_value_tIdElEviPT1_PT2_
    .private_segment_fixed_size: 0
    .sgpr_count:     20
    .sgpr_spill_count: 0
    .symbol:         _ZL35rocblas_iamax_iamin_kernel_part2_64ILi1024E22rocblas_reduce_amax_6424rocblas_index_64_value_tIdElEviPT1_PT2_.kd
    .uniform_work_group_size: 1
    .uses_dynamic_stack: false
    .vgpr_count:     20
    .vgpr_spill_count: 0
    .wavefront_size: 64
  - .args:
      - .offset:         0
        .size:           8
        .value_kind:     by_value
      - .address_space:  global
        .offset:         8
        .size:           8
        .value_kind:     global_buffer
      - .offset:         16
        .size:           8
        .value_kind:     by_value
      - .offset:         24
        .size:           8
        .value_kind:     by_value
      - .offset:         32
        .size:           8
        .value_kind:     by_value
      - .address_space:  global
        .offset:         40
        .size:           8
        .value_kind:     global_buffer
      - .offset:         48
        .size:           4
        .value_kind:     hidden_block_count_x
      - .offset:         52
        .size:           4
        .value_kind:     hidden_block_count_y
      - .offset:         56
        .size:           4
        .value_kind:     hidden_block_count_z
      - .offset:         60
        .size:           2
        .value_kind:     hidden_group_size_x
      - .offset:         62
        .size:           2
        .value_kind:     hidden_group_size_y
      - .offset:         64
        .size:           2
        .value_kind:     hidden_group_size_z
      - .offset:         66
        .size:           2
        .value_kind:     hidden_remainder_x
      - .offset:         68
        .size:           2
        .value_kind:     hidden_remainder_y
      - .offset:         70
        .size:           2
        .value_kind:     hidden_remainder_z
      - .offset:         88
        .size:           8
        .value_kind:     hidden_global_offset_x
      - .offset:         96
        .size:           8
        .value_kind:     hidden_global_offset_y
      - .offset:         104
        .size:           8
        .value_kind:     hidden_global_offset_z
      - .offset:         112
        .size:           2
        .value_kind:     hidden_grid_dims
    .group_segment_fixed_size: 1024
    .kernarg_segment_align: 8
    .kernarg_segment_size: 304
    .language:       OpenCL C
    .language_version:
      - 2
      - 0
    .max_flat_workgroup_size: 1024
    .name:           _ZL35rocblas_iamax_iamin_kernel_part1_64ILi1024E26rocblas_fetch_amax_amin_64IfE22rocblas_reduce_amax_64PK19rocblas_complex_numIfE24rocblas_index_64_value_tIfEEvlT2_lllPT3_
    .private_segment_fixed_size: 0
    .sgpr_count:     36
    .sgpr_spill_count: 0
    .symbol:         _ZL35rocblas_iamax_iamin_kernel_part1_64ILi1024E26rocblas_fetch_amax_amin_64IfE22rocblas_reduce_amax_64PK19rocblas_complex_numIfE24rocblas_index_64_value_tIfEEvlT2_lllPT3_.kd
    .uniform_work_group_size: 1
    .uses_dynamic_stack: false
    .vgpr_count:     24
    .vgpr_spill_count: 0
    .wavefront_size: 64
  - .args:
      - .offset:         0
        .size:           8
        .value_kind:     by_value
      - .address_space:  global
        .offset:         8
        .size:           8
        .value_kind:     global_buffer
      - .offset:         16
        .size:           8
        .value_kind:     by_value
      - .offset:         24
        .size:           8
        .value_kind:     by_value
      - .offset:         32
        .size:           8
        .value_kind:     by_value
      - .address_space:  global
        .offset:         40
        .size:           8
        .value_kind:     global_buffer
      - .offset:         48
        .size:           4
        .value_kind:     hidden_block_count_x
      - .offset:         52
        .size:           4
        .value_kind:     hidden_block_count_y
      - .offset:         56
        .size:           4
        .value_kind:     hidden_block_count_z
      - .offset:         60
        .size:           2
        .value_kind:     hidden_group_size_x
      - .offset:         62
        .size:           2
        .value_kind:     hidden_group_size_y
      - .offset:         64
        .size:           2
        .value_kind:     hidden_group_size_z
      - .offset:         66
        .size:           2
        .value_kind:     hidden_remainder_x
      - .offset:         68
        .size:           2
        .value_kind:     hidden_remainder_y
      - .offset:         70
        .size:           2
        .value_kind:     hidden_remainder_z
      - .offset:         88
        .size:           8
        .value_kind:     hidden_global_offset_x
      - .offset:         96
        .size:           8
        .value_kind:     hidden_global_offset_y
      - .offset:         104
        .size:           8
        .value_kind:     hidden_global_offset_z
      - .offset:         112
        .size:           2
        .value_kind:     hidden_grid_dims
    .group_segment_fixed_size: 1024
    .kernarg_segment_align: 8
    .kernarg_segment_size: 304
    .language:       OpenCL C
    .language_version:
      - 2
      - 0
    .max_flat_workgroup_size: 1024
    .name:           _ZL35rocblas_iamax_iamin_kernel_part1_64ILi1024E26rocblas_fetch_amax_amin_64IdE22rocblas_reduce_amax_64PK19rocblas_complex_numIdE24rocblas_index_64_value_tIdEEvlT2_lllPT3_
    .private_segment_fixed_size: 0
    .sgpr_count:     36
    .sgpr_spill_count: 0
    .symbol:         _ZL35rocblas_iamax_iamin_kernel_part1_64ILi1024E26rocblas_fetch_amax_amin_64IdE22rocblas_reduce_amax_64PK19rocblas_complex_numIdE24rocblas_index_64_value_tIdEEvlT2_lllPT3_.kd
    .uniform_work_group_size: 1
    .uses_dynamic_stack: false
    .vgpr_count:     30
    .vgpr_spill_count: 0
    .wavefront_size: 64
  - .args:
      - .offset:         0
        .size:           8
        .value_kind:     by_value
      - .address_space:  global
        .offset:         8
        .size:           8
        .value_kind:     global_buffer
      - .offset:         16
        .size:           8
        .value_kind:     by_value
      - .offset:         24
        .size:           8
        .value_kind:     by_value
      - .offset:         32
        .size:           8
        .value_kind:     by_value
      - .address_space:  global
        .offset:         40
        .size:           8
        .value_kind:     global_buffer
      - .offset:         48
        .size:           4
        .value_kind:     hidden_block_count_x
      - .offset:         52
        .size:           4
        .value_kind:     hidden_block_count_y
      - .offset:         56
        .size:           4
        .value_kind:     hidden_block_count_z
      - .offset:         60
        .size:           2
        .value_kind:     hidden_group_size_x
      - .offset:         62
        .size:           2
        .value_kind:     hidden_group_size_y
      - .offset:         64
        .size:           2
        .value_kind:     hidden_group_size_z
      - .offset:         66
        .size:           2
        .value_kind:     hidden_remainder_x
      - .offset:         68
        .size:           2
        .value_kind:     hidden_remainder_y
      - .offset:         70
        .size:           2
        .value_kind:     hidden_remainder_z
      - .offset:         88
        .size:           8
        .value_kind:     hidden_global_offset_x
      - .offset:         96
        .size:           8
        .value_kind:     hidden_global_offset_y
      - .offset:         104
        .size:           8
        .value_kind:     hidden_global_offset_z
      - .offset:         112
        .size:           2
        .value_kind:     hidden_grid_dims
    .group_segment_fixed_size: 1024
    .kernarg_segment_align: 8
    .kernarg_segment_size: 304
    .language:       OpenCL C
    .language_version:
      - 2
      - 0
    .max_flat_workgroup_size: 1024
    .name:           _ZL35rocblas_iamax_iamin_kernel_part1_64ILi1024E26rocblas_fetch_amax_amin_64IfE22rocblas_reduce_amax_64PKPKf24rocblas_index_64_value_tIfEEvlT2_lllPT3_
    .private_segment_fixed_size: 0
    .sgpr_count:     34
    .sgpr_spill_count: 0
    .symbol:         _ZL35rocblas_iamax_iamin_kernel_part1_64ILi1024E26rocblas_fetch_amax_amin_64IfE22rocblas_reduce_amax_64PKPKf24rocblas_index_64_value_tIfEEvlT2_lllPT3_.kd
    .uniform_work_group_size: 1
    .uses_dynamic_stack: false
    .vgpr_count:     24
    .vgpr_spill_count: 0
    .wavefront_size: 64
  - .args:
      - .offset:         0
        .size:           8
        .value_kind:     by_value
      - .address_space:  global
        .offset:         8
        .size:           8
        .value_kind:     global_buffer
      - .offset:         16
        .size:           8
        .value_kind:     by_value
      - .offset:         24
        .size:           8
        .value_kind:     by_value
      - .offset:         32
        .size:           8
        .value_kind:     by_value
      - .address_space:  global
        .offset:         40
        .size:           8
        .value_kind:     global_buffer
      - .offset:         48
        .size:           4
        .value_kind:     hidden_block_count_x
      - .offset:         52
        .size:           4
        .value_kind:     hidden_block_count_y
      - .offset:         56
        .size:           4
        .value_kind:     hidden_block_count_z
      - .offset:         60
        .size:           2
        .value_kind:     hidden_group_size_x
      - .offset:         62
        .size:           2
        .value_kind:     hidden_group_size_y
      - .offset:         64
        .size:           2
        .value_kind:     hidden_group_size_z
      - .offset:         66
        .size:           2
        .value_kind:     hidden_remainder_x
      - .offset:         68
        .size:           2
        .value_kind:     hidden_remainder_y
      - .offset:         70
        .size:           2
        .value_kind:     hidden_remainder_z
      - .offset:         88
        .size:           8
        .value_kind:     hidden_global_offset_x
      - .offset:         96
        .size:           8
        .value_kind:     hidden_global_offset_y
      - .offset:         104
        .size:           8
        .value_kind:     hidden_global_offset_z
      - .offset:         112
        .size:           2
        .value_kind:     hidden_grid_dims
    .group_segment_fixed_size: 1024
    .kernarg_segment_align: 8
    .kernarg_segment_size: 304
    .language:       OpenCL C
    .language_version:
      - 2
      - 0
    .max_flat_workgroup_size: 1024
    .name:           _ZL35rocblas_iamax_iamin_kernel_part1_64ILi1024E26rocblas_fetch_amax_amin_64IdE22rocblas_reduce_amax_64PKPKd24rocblas_index_64_value_tIdEEvlT2_lllPT3_
    .private_segment_fixed_size: 0
    .sgpr_count:     34
    .sgpr_spill_count: 0
    .symbol:         _ZL35rocblas_iamax_iamin_kernel_part1_64ILi1024E26rocblas_fetch_amax_amin_64IdE22rocblas_reduce_amax_64PKPKd24rocblas_index_64_value_tIdEEvlT2_lllPT3_.kd
    .uniform_work_group_size: 1
    .uses_dynamic_stack: false
    .vgpr_count:     30
    .vgpr_spill_count: 0
    .wavefront_size: 64
  - .args:
      - .offset:         0
        .size:           8
        .value_kind:     by_value
      - .address_space:  global
        .offset:         8
        .size:           8
        .value_kind:     global_buffer
      - .offset:         16
        .size:           8
        .value_kind:     by_value
      - .offset:         24
        .size:           8
        .value_kind:     by_value
      - .offset:         32
        .size:           8
        .value_kind:     by_value
      - .address_space:  global
        .offset:         40
        .size:           8
        .value_kind:     global_buffer
      - .offset:         48
        .size:           4
        .value_kind:     hidden_block_count_x
      - .offset:         52
        .size:           4
        .value_kind:     hidden_block_count_y
      - .offset:         56
        .size:           4
        .value_kind:     hidden_block_count_z
      - .offset:         60
        .size:           2
        .value_kind:     hidden_group_size_x
      - .offset:         62
        .size:           2
        .value_kind:     hidden_group_size_y
      - .offset:         64
        .size:           2
        .value_kind:     hidden_group_size_z
      - .offset:         66
        .size:           2
        .value_kind:     hidden_remainder_x
      - .offset:         68
        .size:           2
        .value_kind:     hidden_remainder_y
      - .offset:         70
        .size:           2
        .value_kind:     hidden_remainder_z
      - .offset:         88
        .size:           8
        .value_kind:     hidden_global_offset_x
      - .offset:         96
        .size:           8
        .value_kind:     hidden_global_offset_y
      - .offset:         104
        .size:           8
        .value_kind:     hidden_global_offset_z
      - .offset:         112
        .size:           2
        .value_kind:     hidden_grid_dims
    .group_segment_fixed_size: 1024
    .kernarg_segment_align: 8
    .kernarg_segment_size: 304
    .language:       OpenCL C
    .language_version:
      - 2
      - 0
    .max_flat_workgroup_size: 1024
    .name:           _ZL35rocblas_iamax_iamin_kernel_part1_64ILi1024E26rocblas_fetch_amax_amin_64IfE22rocblas_reduce_amax_64PKPK19rocblas_complex_numIfE24rocblas_index_64_value_tIfEEvlT2_lllPT3_
    .private_segment_fixed_size: 0
    .sgpr_count:     34
    .sgpr_spill_count: 0
    .symbol:         _ZL35rocblas_iamax_iamin_kernel_part1_64ILi1024E26rocblas_fetch_amax_amin_64IfE22rocblas_reduce_amax_64PKPK19rocblas_complex_numIfE24rocblas_index_64_value_tIfEEvlT2_lllPT3_.kd
    .uniform_work_group_size: 1
    .uses_dynamic_stack: false
    .vgpr_count:     24
    .vgpr_spill_count: 0
    .wavefront_size: 64
  - .args:
      - .offset:         0
        .size:           8
        .value_kind:     by_value
      - .address_space:  global
        .offset:         8
        .size:           8
        .value_kind:     global_buffer
      - .offset:         16
        .size:           8
        .value_kind:     by_value
      - .offset:         24
        .size:           8
        .value_kind:     by_value
      - .offset:         32
        .size:           8
        .value_kind:     by_value
      - .address_space:  global
        .offset:         40
        .size:           8
        .value_kind:     global_buffer
      - .offset:         48
        .size:           4
        .value_kind:     hidden_block_count_x
      - .offset:         52
        .size:           4
        .value_kind:     hidden_block_count_y
      - .offset:         56
        .size:           4
        .value_kind:     hidden_block_count_z
      - .offset:         60
        .size:           2
        .value_kind:     hidden_group_size_x
      - .offset:         62
        .size:           2
        .value_kind:     hidden_group_size_y
      - .offset:         64
        .size:           2
        .value_kind:     hidden_group_size_z
      - .offset:         66
        .size:           2
        .value_kind:     hidden_remainder_x
      - .offset:         68
        .size:           2
        .value_kind:     hidden_remainder_y
      - .offset:         70
        .size:           2
        .value_kind:     hidden_remainder_z
      - .offset:         88
        .size:           8
        .value_kind:     hidden_global_offset_x
      - .offset:         96
        .size:           8
        .value_kind:     hidden_global_offset_y
      - .offset:         104
        .size:           8
        .value_kind:     hidden_global_offset_z
      - .offset:         112
        .size:           2
        .value_kind:     hidden_grid_dims
    .group_segment_fixed_size: 1024
    .kernarg_segment_align: 8
    .kernarg_segment_size: 304
    .language:       OpenCL C
    .language_version:
      - 2
      - 0
    .max_flat_workgroup_size: 1024
    .name:           _ZL35rocblas_iamax_iamin_kernel_part1_64ILi1024E26rocblas_fetch_amax_amin_64IdE22rocblas_reduce_amax_64PKPK19rocblas_complex_numIdE24rocblas_index_64_value_tIdEEvlT2_lllPT3_
    .private_segment_fixed_size: 0
    .sgpr_count:     34
    .sgpr_spill_count: 0
    .symbol:         _ZL35rocblas_iamax_iamin_kernel_part1_64ILi1024E26rocblas_fetch_amax_amin_64IdE22rocblas_reduce_amax_64PKPK19rocblas_complex_numIdE24rocblas_index_64_value_tIdEEvlT2_lllPT3_.kd
    .uniform_work_group_size: 1
    .uses_dynamic_stack: false
    .vgpr_count:     30
    .vgpr_spill_count: 0
    .wavefront_size: 64
  - .args:
      - .offset:         0
        .size:           8
        .value_kind:     by_value
      - .address_space:  global
        .offset:         8
        .size:           8
        .value_kind:     global_buffer
      - .offset:         16
        .size:           8
        .value_kind:     by_value
      - .offset:         24
        .size:           8
        .value_kind:     by_value
      - .offset:         32
        .size:           8
        .value_kind:     by_value
      - .address_space:  global
        .offset:         40
        .size:           8
        .value_kind:     global_buffer
      - .offset:         48
        .size:           4
        .value_kind:     hidden_block_count_x
      - .offset:         52
        .size:           4
        .value_kind:     hidden_block_count_y
      - .offset:         56
        .size:           4
        .value_kind:     hidden_block_count_z
      - .offset:         60
        .size:           2
        .value_kind:     hidden_group_size_x
      - .offset:         62
        .size:           2
        .value_kind:     hidden_group_size_y
      - .offset:         64
        .size:           2
        .value_kind:     hidden_group_size_z
      - .offset:         66
        .size:           2
        .value_kind:     hidden_remainder_x
      - .offset:         68
        .size:           2
        .value_kind:     hidden_remainder_y
      - .offset:         70
        .size:           2
        .value_kind:     hidden_remainder_z
      - .offset:         88
        .size:           8
        .value_kind:     hidden_global_offset_x
      - .offset:         96
        .size:           8
        .value_kind:     hidden_global_offset_y
      - .offset:         104
        .size:           8
        .value_kind:     hidden_global_offset_z
      - .offset:         112
        .size:           2
        .value_kind:     hidden_grid_dims
    .group_segment_fixed_size: 1024
    .kernarg_segment_align: 8
    .kernarg_segment_size: 304
    .language:       OpenCL C
    .language_version:
      - 2
      - 0
    .max_flat_workgroup_size: 1024
    .name:           _ZL35rocblas_iamax_iamin_kernel_part1_64ILi1024E26rocblas_fetch_amax_amin_64IfE22rocblas_reduce_amin_64PKf24rocblas_index_64_value_tIfEEvlT2_lllPT3_
    .private_segment_fixed_size: 0
    .sgpr_count:     36
    .sgpr_spill_count: 0
    .symbol:         _ZL35rocblas_iamax_iamin_kernel_part1_64ILi1024E26rocblas_fetch_amax_amin_64IfE22rocblas_reduce_amin_64PKf24rocblas_index_64_value_tIfEEvlT2_lllPT3_.kd
    .uniform_work_group_size: 1
    .uses_dynamic_stack: false
    .vgpr_count:     24
    .vgpr_spill_count: 0
    .wavefront_size: 64
  - .args:
      - .offset:         0
        .size:           4
        .value_kind:     by_value
      - .address_space:  global
        .offset:         8
        .size:           8
        .value_kind:     global_buffer
      - .address_space:  global
        .offset:         16
        .size:           8
        .value_kind:     global_buffer
    .group_segment_fixed_size: 1024
    .kernarg_segment_align: 8
    .kernarg_segment_size: 24
    .language:       OpenCL C
    .language_version:
      - 2
      - 0
    .max_flat_workgroup_size: 1024
    .name:           _ZL35rocblas_iamax_iamin_kernel_part2_64ILi1024E22rocblas_reduce_amin_6424rocblas_index_64_value_tIfElEviPT1_PT2_
    .private_segment_fixed_size: 0
    .sgpr_count:     20
    .sgpr_spill_count: 0
    .symbol:         _ZL35rocblas_iamax_iamin_kernel_part2_64ILi1024E22rocblas_reduce_amin_6424rocblas_index_64_value_tIfElEviPT1_PT2_.kd
    .uniform_work_group_size: 1
    .uses_dynamic_stack: false
    .vgpr_count:     16
    .vgpr_spill_count: 0
    .wavefront_size: 64
  - .args:
      - .offset:         0
        .size:           8
        .value_kind:     by_value
      - .address_space:  global
        .offset:         8
        .size:           8
        .value_kind:     global_buffer
      - .offset:         16
        .size:           8
        .value_kind:     by_value
      - .offset:         24
        .size:           8
        .value_kind:     by_value
      - .offset:         32
        .size:           8
        .value_kind:     by_value
      - .address_space:  global
        .offset:         40
        .size:           8
        .value_kind:     global_buffer
      - .offset:         48
        .size:           4
        .value_kind:     hidden_block_count_x
      - .offset:         52
        .size:           4
        .value_kind:     hidden_block_count_y
      - .offset:         56
        .size:           4
        .value_kind:     hidden_block_count_z
      - .offset:         60
        .size:           2
        .value_kind:     hidden_group_size_x
      - .offset:         62
        .size:           2
        .value_kind:     hidden_group_size_y
      - .offset:         64
        .size:           2
        .value_kind:     hidden_group_size_z
      - .offset:         66
        .size:           2
        .value_kind:     hidden_remainder_x
      - .offset:         68
        .size:           2
        .value_kind:     hidden_remainder_y
      - .offset:         70
        .size:           2
        .value_kind:     hidden_remainder_z
      - .offset:         88
        .size:           8
        .value_kind:     hidden_global_offset_x
      - .offset:         96
        .size:           8
        .value_kind:     hidden_global_offset_y
      - .offset:         104
        .size:           8
        .value_kind:     hidden_global_offset_z
      - .offset:         112
        .size:           2
        .value_kind:     hidden_grid_dims
    .group_segment_fixed_size: 1024
    .kernarg_segment_align: 8
    .kernarg_segment_size: 304
    .language:       OpenCL C
    .language_version:
      - 2
      - 0
    .max_flat_workgroup_size: 1024
    .name:           _ZL35rocblas_iamax_iamin_kernel_part1_64ILi1024E26rocblas_fetch_amax_amin_64IdE22rocblas_reduce_amin_64PKd24rocblas_index_64_value_tIdEEvlT2_lllPT3_
    .private_segment_fixed_size: 0
    .sgpr_count:     36
    .sgpr_spill_count: 0
    .symbol:         _ZL35rocblas_iamax_iamin_kernel_part1_64ILi1024E26rocblas_fetch_amax_amin_64IdE22rocblas_reduce_amin_64PKd24rocblas_index_64_value_tIdEEvlT2_lllPT3_.kd
    .uniform_work_group_size: 1
    .uses_dynamic_stack: false
    .vgpr_count:     30
    .vgpr_spill_count: 0
    .wavefront_size: 64
  - .args:
      - .offset:         0
        .size:           4
        .value_kind:     by_value
      - .address_space:  global
        .offset:         8
        .size:           8
        .value_kind:     global_buffer
      - .address_space:  global
        .offset:         16
        .size:           8
        .value_kind:     global_buffer
    .group_segment_fixed_size: 1024
    .kernarg_segment_align: 8
    .kernarg_segment_size: 24
    .language:       OpenCL C
    .language_version:
      - 2
      - 0
    .max_flat_workgroup_size: 1024
    .name:           _ZL35rocblas_iamax_iamin_kernel_part2_64ILi1024E22rocblas_reduce_amin_6424rocblas_index_64_value_tIdElEviPT1_PT2_
    .private_segment_fixed_size: 0
    .sgpr_count:     20
    .sgpr_spill_count: 0
    .symbol:         _ZL35rocblas_iamax_iamin_kernel_part2_64ILi1024E22rocblas_reduce_amin_6424rocblas_index_64_value_tIdElEviPT1_PT2_.kd
    .uniform_work_group_size: 1
    .uses_dynamic_stack: false
    .vgpr_count:     20
    .vgpr_spill_count: 0
    .wavefront_size: 64
  - .args:
      - .offset:         0
        .size:           8
        .value_kind:     by_value
      - .address_space:  global
        .offset:         8
        .size:           8
        .value_kind:     global_buffer
      - .offset:         16
        .size:           8
        .value_kind:     by_value
      - .offset:         24
        .size:           8
        .value_kind:     by_value
      - .offset:         32
        .size:           8
        .value_kind:     by_value
      - .address_space:  global
        .offset:         40
        .size:           8
        .value_kind:     global_buffer
      - .offset:         48
        .size:           4
        .value_kind:     hidden_block_count_x
      - .offset:         52
        .size:           4
        .value_kind:     hidden_block_count_y
      - .offset:         56
        .size:           4
        .value_kind:     hidden_block_count_z
      - .offset:         60
        .size:           2
        .value_kind:     hidden_group_size_x
      - .offset:         62
        .size:           2
        .value_kind:     hidden_group_size_y
      - .offset:         64
        .size:           2
        .value_kind:     hidden_group_size_z
      - .offset:         66
        .size:           2
        .value_kind:     hidden_remainder_x
      - .offset:         68
        .size:           2
        .value_kind:     hidden_remainder_y
      - .offset:         70
        .size:           2
        .value_kind:     hidden_remainder_z
      - .offset:         88
        .size:           8
        .value_kind:     hidden_global_offset_x
      - .offset:         96
        .size:           8
        .value_kind:     hidden_global_offset_y
      - .offset:         104
        .size:           8
        .value_kind:     hidden_global_offset_z
      - .offset:         112
        .size:           2
        .value_kind:     hidden_grid_dims
    .group_segment_fixed_size: 1024
    .kernarg_segment_align: 8
    .kernarg_segment_size: 304
    .language:       OpenCL C
    .language_version:
      - 2
      - 0
    .max_flat_workgroup_size: 1024
    .name:           _ZL35rocblas_iamax_iamin_kernel_part1_64ILi1024E26rocblas_fetch_amax_amin_64IfE22rocblas_reduce_amin_64PK19rocblas_complex_numIfE24rocblas_index_64_value_tIfEEvlT2_lllPT3_
    .private_segment_fixed_size: 0
    .sgpr_count:     36
    .sgpr_spill_count: 0
    .symbol:         _ZL35rocblas_iamax_iamin_kernel_part1_64ILi1024E26rocblas_fetch_amax_amin_64IfE22rocblas_reduce_amin_64PK19rocblas_complex_numIfE24rocblas_index_64_value_tIfEEvlT2_lllPT3_.kd
    .uniform_work_group_size: 1
    .uses_dynamic_stack: false
    .vgpr_count:     24
    .vgpr_spill_count: 0
    .wavefront_size: 64
  - .args:
      - .offset:         0
        .size:           8
        .value_kind:     by_value
      - .address_space:  global
        .offset:         8
        .size:           8
        .value_kind:     global_buffer
      - .offset:         16
        .size:           8
        .value_kind:     by_value
      - .offset:         24
        .size:           8
        .value_kind:     by_value
      - .offset:         32
        .size:           8
        .value_kind:     by_value
      - .address_space:  global
        .offset:         40
        .size:           8
        .value_kind:     global_buffer
      - .offset:         48
        .size:           4
        .value_kind:     hidden_block_count_x
      - .offset:         52
        .size:           4
        .value_kind:     hidden_block_count_y
      - .offset:         56
        .size:           4
        .value_kind:     hidden_block_count_z
      - .offset:         60
        .size:           2
        .value_kind:     hidden_group_size_x
      - .offset:         62
        .size:           2
        .value_kind:     hidden_group_size_y
      - .offset:         64
        .size:           2
        .value_kind:     hidden_group_size_z
      - .offset:         66
        .size:           2
        .value_kind:     hidden_remainder_x
      - .offset:         68
        .size:           2
        .value_kind:     hidden_remainder_y
      - .offset:         70
        .size:           2
        .value_kind:     hidden_remainder_z
      - .offset:         88
        .size:           8
        .value_kind:     hidden_global_offset_x
      - .offset:         96
        .size:           8
        .value_kind:     hidden_global_offset_y
      - .offset:         104
        .size:           8
        .value_kind:     hidden_global_offset_z
      - .offset:         112
        .size:           2
        .value_kind:     hidden_grid_dims
    .group_segment_fixed_size: 1024
    .kernarg_segment_align: 8
    .kernarg_segment_size: 304
    .language:       OpenCL C
    .language_version:
      - 2
      - 0
    .max_flat_workgroup_size: 1024
    .name:           _ZL35rocblas_iamax_iamin_kernel_part1_64ILi1024E26rocblas_fetch_amax_amin_64IdE22rocblas_reduce_amin_64PK19rocblas_complex_numIdE24rocblas_index_64_value_tIdEEvlT2_lllPT3_
    .private_segment_fixed_size: 0
    .sgpr_count:     36
    .sgpr_spill_count: 0
    .symbol:         _ZL35rocblas_iamax_iamin_kernel_part1_64ILi1024E26rocblas_fetch_amax_amin_64IdE22rocblas_reduce_amin_64PK19rocblas_complex_numIdE24rocblas_index_64_value_tIdEEvlT2_lllPT3_.kd
    .uniform_work_group_size: 1
    .uses_dynamic_stack: false
    .vgpr_count:     30
    .vgpr_spill_count: 0
    .wavefront_size: 64
  - .args:
      - .offset:         0
        .size:           8
        .value_kind:     by_value
      - .address_space:  global
        .offset:         8
        .size:           8
        .value_kind:     global_buffer
      - .offset:         16
        .size:           8
        .value_kind:     by_value
      - .offset:         24
        .size:           8
        .value_kind:     by_value
      - .offset:         32
        .size:           8
        .value_kind:     by_value
      - .address_space:  global
        .offset:         40
        .size:           8
        .value_kind:     global_buffer
      - .offset:         48
        .size:           4
        .value_kind:     hidden_block_count_x
      - .offset:         52
        .size:           4
        .value_kind:     hidden_block_count_y
      - .offset:         56
        .size:           4
        .value_kind:     hidden_block_count_z
      - .offset:         60
        .size:           2
        .value_kind:     hidden_group_size_x
      - .offset:         62
        .size:           2
        .value_kind:     hidden_group_size_y
      - .offset:         64
        .size:           2
        .value_kind:     hidden_group_size_z
      - .offset:         66
        .size:           2
        .value_kind:     hidden_remainder_x
      - .offset:         68
        .size:           2
        .value_kind:     hidden_remainder_y
      - .offset:         70
        .size:           2
        .value_kind:     hidden_remainder_z
      - .offset:         88
        .size:           8
        .value_kind:     hidden_global_offset_x
      - .offset:         96
        .size:           8
        .value_kind:     hidden_global_offset_y
      - .offset:         104
        .size:           8
        .value_kind:     hidden_global_offset_z
      - .offset:         112
        .size:           2
        .value_kind:     hidden_grid_dims
    .group_segment_fixed_size: 1024
    .kernarg_segment_align: 8
    .kernarg_segment_size: 304
    .language:       OpenCL C
    .language_version:
      - 2
      - 0
    .max_flat_workgroup_size: 1024
    .name:           _ZL35rocblas_iamax_iamin_kernel_part1_64ILi1024E26rocblas_fetch_amax_amin_64IfE22rocblas_reduce_amin_64PKPKf24rocblas_index_64_value_tIfEEvlT2_lllPT3_
    .private_segment_fixed_size: 0
    .sgpr_count:     34
    .sgpr_spill_count: 0
    .symbol:         _ZL35rocblas_iamax_iamin_kernel_part1_64ILi1024E26rocblas_fetch_amax_amin_64IfE22rocblas_reduce_amin_64PKPKf24rocblas_index_64_value_tIfEEvlT2_lllPT3_.kd
    .uniform_work_group_size: 1
    .uses_dynamic_stack: false
    .vgpr_count:     24
    .vgpr_spill_count: 0
    .wavefront_size: 64
  - .args:
      - .offset:         0
        .size:           8
        .value_kind:     by_value
      - .address_space:  global
        .offset:         8
        .size:           8
        .value_kind:     global_buffer
      - .offset:         16
        .size:           8
        .value_kind:     by_value
      - .offset:         24
        .size:           8
        .value_kind:     by_value
      - .offset:         32
        .size:           8
        .value_kind:     by_value
      - .address_space:  global
        .offset:         40
        .size:           8
        .value_kind:     global_buffer
      - .offset:         48
        .size:           4
        .value_kind:     hidden_block_count_x
      - .offset:         52
        .size:           4
        .value_kind:     hidden_block_count_y
      - .offset:         56
        .size:           4
        .value_kind:     hidden_block_count_z
      - .offset:         60
        .size:           2
        .value_kind:     hidden_group_size_x
      - .offset:         62
        .size:           2
        .value_kind:     hidden_group_size_y
      - .offset:         64
        .size:           2
        .value_kind:     hidden_group_size_z
      - .offset:         66
        .size:           2
        .value_kind:     hidden_remainder_x
      - .offset:         68
        .size:           2
        .value_kind:     hidden_remainder_y
      - .offset:         70
        .size:           2
        .value_kind:     hidden_remainder_z
      - .offset:         88
        .size:           8
        .value_kind:     hidden_global_offset_x
      - .offset:         96
        .size:           8
        .value_kind:     hidden_global_offset_y
      - .offset:         104
        .size:           8
        .value_kind:     hidden_global_offset_z
      - .offset:         112
        .size:           2
        .value_kind:     hidden_grid_dims
    .group_segment_fixed_size: 1024
    .kernarg_segment_align: 8
    .kernarg_segment_size: 304
    .language:       OpenCL C
    .language_version:
      - 2
      - 0
    .max_flat_workgroup_size: 1024
    .name:           _ZL35rocblas_iamax_iamin_kernel_part1_64ILi1024E26rocblas_fetch_amax_amin_64IdE22rocblas_reduce_amin_64PKPKd24rocblas_index_64_value_tIdEEvlT2_lllPT3_
    .private_segment_fixed_size: 0
    .sgpr_count:     34
    .sgpr_spill_count: 0
    .symbol:         _ZL35rocblas_iamax_iamin_kernel_part1_64ILi1024E26rocblas_fetch_amax_amin_64IdE22rocblas_reduce_amin_64PKPKd24rocblas_index_64_value_tIdEEvlT2_lllPT3_.kd
    .uniform_work_group_size: 1
    .uses_dynamic_stack: false
    .vgpr_count:     30
    .vgpr_spill_count: 0
    .wavefront_size: 64
  - .args:
      - .offset:         0
        .size:           8
        .value_kind:     by_value
      - .address_space:  global
        .offset:         8
        .size:           8
        .value_kind:     global_buffer
      - .offset:         16
        .size:           8
        .value_kind:     by_value
      - .offset:         24
        .size:           8
        .value_kind:     by_value
      - .offset:         32
        .size:           8
        .value_kind:     by_value
      - .address_space:  global
        .offset:         40
        .size:           8
        .value_kind:     global_buffer
      - .offset:         48
        .size:           4
        .value_kind:     hidden_block_count_x
      - .offset:         52
        .size:           4
        .value_kind:     hidden_block_count_y
      - .offset:         56
        .size:           4
        .value_kind:     hidden_block_count_z
      - .offset:         60
        .size:           2
        .value_kind:     hidden_group_size_x
      - .offset:         62
        .size:           2
        .value_kind:     hidden_group_size_y
      - .offset:         64
        .size:           2
        .value_kind:     hidden_group_size_z
      - .offset:         66
        .size:           2
        .value_kind:     hidden_remainder_x
      - .offset:         68
        .size:           2
        .value_kind:     hidden_remainder_y
      - .offset:         70
        .size:           2
        .value_kind:     hidden_remainder_z
      - .offset:         88
        .size:           8
        .value_kind:     hidden_global_offset_x
      - .offset:         96
        .size:           8
        .value_kind:     hidden_global_offset_y
      - .offset:         104
        .size:           8
        .value_kind:     hidden_global_offset_z
      - .offset:         112
        .size:           2
        .value_kind:     hidden_grid_dims
    .group_segment_fixed_size: 1024
    .kernarg_segment_align: 8
    .kernarg_segment_size: 304
    .language:       OpenCL C
    .language_version:
      - 2
      - 0
    .max_flat_workgroup_size: 1024
    .name:           _ZL35rocblas_iamax_iamin_kernel_part1_64ILi1024E26rocblas_fetch_amax_amin_64IfE22rocblas_reduce_amin_64PKPK19rocblas_complex_numIfE24rocblas_index_64_value_tIfEEvlT2_lllPT3_
    .private_segment_fixed_size: 0
    .sgpr_count:     34
    .sgpr_spill_count: 0
    .symbol:         _ZL35rocblas_iamax_iamin_kernel_part1_64ILi1024E26rocblas_fetch_amax_amin_64IfE22rocblas_reduce_amin_64PKPK19rocblas_complex_numIfE24rocblas_index_64_value_tIfEEvlT2_lllPT3_.kd
    .uniform_work_group_size: 1
    .uses_dynamic_stack: false
    .vgpr_count:     24
    .vgpr_spill_count: 0
    .wavefront_size: 64
  - .args:
      - .offset:         0
        .size:           8
        .value_kind:     by_value
      - .address_space:  global
        .offset:         8
        .size:           8
        .value_kind:     global_buffer
      - .offset:         16
        .size:           8
        .value_kind:     by_value
      - .offset:         24
        .size:           8
        .value_kind:     by_value
      - .offset:         32
        .size:           8
        .value_kind:     by_value
      - .address_space:  global
        .offset:         40
        .size:           8
        .value_kind:     global_buffer
      - .offset:         48
        .size:           4
        .value_kind:     hidden_block_count_x
      - .offset:         52
        .size:           4
        .value_kind:     hidden_block_count_y
      - .offset:         56
        .size:           4
        .value_kind:     hidden_block_count_z
      - .offset:         60
        .size:           2
        .value_kind:     hidden_group_size_x
      - .offset:         62
        .size:           2
        .value_kind:     hidden_group_size_y
      - .offset:         64
        .size:           2
        .value_kind:     hidden_group_size_z
      - .offset:         66
        .size:           2
        .value_kind:     hidden_remainder_x
      - .offset:         68
        .size:           2
        .value_kind:     hidden_remainder_y
      - .offset:         70
        .size:           2
        .value_kind:     hidden_remainder_z
      - .offset:         88
        .size:           8
        .value_kind:     hidden_global_offset_x
      - .offset:         96
        .size:           8
        .value_kind:     hidden_global_offset_y
      - .offset:         104
        .size:           8
        .value_kind:     hidden_global_offset_z
      - .offset:         112
        .size:           2
        .value_kind:     hidden_grid_dims
    .group_segment_fixed_size: 1024
    .kernarg_segment_align: 8
    .kernarg_segment_size: 304
    .language:       OpenCL C
    .language_version:
      - 2
      - 0
    .max_flat_workgroup_size: 1024
    .name:           _ZL35rocblas_iamax_iamin_kernel_part1_64ILi1024E26rocblas_fetch_amax_amin_64IdE22rocblas_reduce_amin_64PKPK19rocblas_complex_numIdE24rocblas_index_64_value_tIdEEvlT2_lllPT3_
    .private_segment_fixed_size: 0
    .sgpr_count:     34
    .sgpr_spill_count: 0
    .symbol:         _ZL35rocblas_iamax_iamin_kernel_part1_64ILi1024E26rocblas_fetch_amax_amin_64IdE22rocblas_reduce_amin_64PKPK19rocblas_complex_numIdE24rocblas_index_64_value_tIdEEvlT2_lllPT3_.kd
    .uniform_work_group_size: 1
    .uses_dynamic_stack: false
    .vgpr_count:     30
    .vgpr_spill_count: 0
    .wavefront_size: 64
amdhsa.target:   amdgcn-amd-amdhsa--gfx906
amdhsa.version:
  - 1
  - 2
...

	.end_amdgpu_metadata
